;; amdgpu-corpus repo=zjin-lcf/HeCBench kind=compiled arch=gfx90a opt=O3
	.text
	.amdgcn_target "amdgcn-amd-amdhsa--gfx90a"
	.amdhsa_code_object_version 6
	.protected	_Z19kernel_baseToNumberPcl ; -- Begin function _Z19kernel_baseToNumberPcl
	.globl	_Z19kernel_baseToNumberPcl
	.p2align	8
	.type	_Z19kernel_baseToNumberPcl,@function
_Z19kernel_baseToNumberPcl:             ; @_Z19kernel_baseToNumberPcl
; %bb.0:
	s_load_dword s7, s[4:5], 0x1c
	s_load_dwordx4 s[0:3], s[4:5], 0x0
	v_mov_b32_e32 v1, 0
	s_waitcnt lgkmcnt(0)
	s_and_b32 s4, s7, 0xffff
	s_mul_i32 s6, s6, s4
	v_add_u32_e32 v0, s6, v0
	v_cmp_gt_i64_e32 vcc, s[2:3], v[0:1]
	s_and_saveexec_b64 s[4:5], vcc
	s_cbranch_execz .LBB0_53
; %bb.1:
	s_mov_b64 s[4:5], 0
	v_mov_b32_e32 v4, s1
	s_movk_i32 s1, 0x60
	s_movk_i32 s20, 0x66
	;; [unrolled: 1-line block ×17, first 2 shown]
	s_branch .LBB0_3
.LBB0_2:                                ;   in Loop: Header=BB0_3 Depth=1
	s_or_b64 exec, exec, s[8:9]
	v_add_co_u32_e32 v0, vcc, 0x4000, v0
	v_addc_co_u32_e32 v1, vcc, 0, v1, vcc
	v_cmp_le_i64_e32 vcc, s[2:3], v[0:1]
	s_or_b64 s[4:5], vcc, s[4:5]
	global_store_byte v[2:3], v5, off
	s_andn2_b64 exec, exec, s[4:5]
	s_cbranch_execz .LBB0_53
.LBB0_3:                                ; =>This Inner Loop Header: Depth=1
	v_add_co_u32_e32 v2, vcc, s0, v0
	v_addc_co_u32_e32 v3, vcc, v4, v1, vcc
	global_load_ubyte v6, v[2:3], off
	s_mov_b64 s[6:7], 0
                                        ; implicit-def: $vgpr5
	s_waitcnt vmcnt(0)
	v_cmp_lt_i16_e32 vcc, s1, v6
	s_and_saveexec_b64 s[8:9], vcc
	s_xor_b64 s[8:9], exec, s[8:9]
	s_cbranch_execnz .LBB0_6
; %bb.4:                                ;   in Loop: Header=BB0_3 Depth=1
	s_andn2_saveexec_b64 s[8:9], s[8:9]
	s_cbranch_execnz .LBB0_29
.LBB0_5:                                ;   in Loop: Header=BB0_3 Depth=1
	s_or_b64 exec, exec, s[8:9]
	s_and_saveexec_b64 s[8:9], s[6:7]
	s_cbranch_execz .LBB0_2
	s_branch .LBB0_52
.LBB0_6:                                ;   in Loop: Header=BB0_3 Depth=1
	v_cmp_lt_i16_e32 vcc, s20, v6
	s_mov_b64 s[10:11], 0
                                        ; implicit-def: $vgpr5
	s_and_saveexec_b64 s[6:7], vcc
	s_xor_b64 s[6:7], exec, s[6:7]
	s_cbranch_execz .LBB0_20
; %bb.7:                                ;   in Loop: Header=BB0_3 Depth=1
	v_cmp_lt_i16_e32 vcc, s21, v6
	s_mov_b64 s[12:13], 0
                                        ; implicit-def: $vgpr5
	s_and_saveexec_b64 s[10:11], vcc
	s_xor_b64 s[10:11], exec, s[10:11]
	s_cbranch_execz .LBB0_15
; %bb.8:                                ;   in Loop: Header=BB0_3 Depth=1
	v_cmp_lt_i16_e32 vcc, s22, v6
                                        ; implicit-def: $sgpr18
	s_and_saveexec_b64 s[14:15], vcc
	s_xor_b64 s[14:15], exec, s[14:15]
	s_cbranch_execz .LBB0_12
; %bb.9:                                ;   in Loop: Header=BB0_3 Depth=1
	v_cmp_eq_u16_e32 vcc, s23, v6
	s_mov_b64 s[12:13], -1
                                        ; implicit-def: $sgpr18
	s_and_saveexec_b64 s[16:17], vcc
; %bb.10:                               ;   in Loop: Header=BB0_3 Depth=1
	s_mov_b32 s18, 3
	s_xor_b64 s[12:13], exec, -1
; %bb.11:                               ;   in Loop: Header=BB0_3 Depth=1
	s_or_b64 exec, exec, s[16:17]
	s_and_b64 s[12:13], s[12:13], exec
.LBB0_12:                               ;   in Loop: Header=BB0_3 Depth=1
	s_or_saveexec_b64 s[14:15], s[14:15]
	v_mov_b32_e32 v5, s18
	s_xor_b64 exec, exec, s[14:15]
; %bb.13:                               ;   in Loop: Header=BB0_3 Depth=1
	v_mov_b32_e32 v5, 3
; %bb.14:                               ;   in Loop: Header=BB0_3 Depth=1
	s_or_b64 exec, exec, s[14:15]
	s_and_b64 s[12:13], s[12:13], exec
                                        ; implicit-def: $vgpr6
.LBB0_15:                               ;   in Loop: Header=BB0_3 Depth=1
	s_andn2_saveexec_b64 s[10:11], s[10:11]
	s_cbranch_execz .LBB0_19
; %bb.16:                               ;   in Loop: Header=BB0_3 Depth=1
	v_cmp_eq_u16_e32 vcc, s24, v6
	s_mov_b64 s[14:15], -1
                                        ; implicit-def: $sgpr18
	s_and_saveexec_b64 s[16:17], vcc
; %bb.17:                               ;   in Loop: Header=BB0_3 Depth=1
	s_mov_b32 s18, 2
	s_xor_b64 s[14:15], exec, -1
; %bb.18:                               ;   in Loop: Header=BB0_3 Depth=1
	s_or_b64 exec, exec, s[16:17]
	s_andn2_b64 s[12:13], s[12:13], exec
	s_and_b64 s[14:15], s[14:15], exec
	v_mov_b32_e32 v5, s18
	s_or_b64 s[12:13], s[12:13], s[14:15]
.LBB0_19:                               ;   in Loop: Header=BB0_3 Depth=1
	s_or_b64 exec, exec, s[10:11]
	s_and_b64 s[10:11], s[12:13], exec
                                        ; implicit-def: $vgpr6
.LBB0_20:                               ;   in Loop: Header=BB0_3 Depth=1
	s_andn2_saveexec_b64 s[6:7], s[6:7]
	s_cbranch_execz .LBB0_28
; %bb.21:                               ;   in Loop: Header=BB0_3 Depth=1
	v_cmp_lt_i16_e32 vcc, s25, v6
	s_mov_b64 s[12:13], s[10:11]
                                        ; implicit-def: $sgpr18
	s_and_saveexec_b64 s[14:15], vcc
	s_xor_b64 s[14:15], exec, s[14:15]
	s_cbranch_execz .LBB0_25
; %bb.22:                               ;   in Loop: Header=BB0_3 Depth=1
	v_cmp_eq_u16_e32 vcc, s26, v6
	s_mov_b64 s[12:13], -1
                                        ; implicit-def: $sgpr18
	s_and_saveexec_b64 s[16:17], vcc
; %bb.23:                               ;   in Loop: Header=BB0_3 Depth=1
	s_mov_b32 s18, 1
	s_xor_b64 s[12:13], exec, -1
; %bb.24:                               ;   in Loop: Header=BB0_3 Depth=1
	s_or_b64 exec, exec, s[16:17]
	s_andn2_b64 s[16:17], s[10:11], exec
	s_and_b64 s[12:13], s[12:13], exec
	s_or_b64 s[12:13], s[16:17], s[12:13]
                                        ; implicit-def: $vgpr6
.LBB0_25:                               ;   in Loop: Header=BB0_3 Depth=1
	s_or_saveexec_b64 s[14:15], s[14:15]
	v_mov_b32_e32 v5, s18
	s_xor_b64 exec, exec, s[14:15]
; %bb.26:                               ;   in Loop: Header=BB0_3 Depth=1
	v_cmp_ne_u16_e32 vcc, s27, v6
	s_andn2_b64 s[12:13], s[12:13], exec
	s_and_b64 s[16:17], vcc, exec
	v_mov_b32_e32 v5, 0
	s_or_b64 s[12:13], s[12:13], s[16:17]
; %bb.27:                               ;   in Loop: Header=BB0_3 Depth=1
	s_or_b64 exec, exec, s[14:15]
	s_andn2_b64 s[10:11], s[10:11], exec
	s_and_b64 s[12:13], s[12:13], exec
	s_or_b64 s[10:11], s[10:11], s[12:13]
.LBB0_28:                               ;   in Loop: Header=BB0_3 Depth=1
	s_or_b64 exec, exec, s[6:7]
	s_and_b64 s[6:7], s[10:11], exec
                                        ; implicit-def: $vgpr6
	s_andn2_saveexec_b64 s[8:9], s[8:9]
	s_cbranch_execz .LBB0_5
.LBB0_29:                               ;   in Loop: Header=BB0_3 Depth=1
	v_cmp_lt_i16_e32 vcc, s28, v6
	s_mov_b64 s[12:13], s[6:7]
                                        ; implicit-def: $vgpr5
	s_and_saveexec_b64 s[10:11], vcc
	s_xor_b64 s[10:11], exec, s[10:11]
	s_cbranch_execz .LBB0_43
; %bb.30:                               ;   in Loop: Header=BB0_3 Depth=1
	v_cmp_lt_i16_e32 vcc, s29, v6
	s_mov_b64 s[14:15], s[6:7]
                                        ; implicit-def: $vgpr5
	s_and_saveexec_b64 s[12:13], vcc
	s_xor_b64 s[12:13], exec, s[12:13]
	s_cbranch_execz .LBB0_38
; %bb.31:                               ;   in Loop: Header=BB0_3 Depth=1
	v_cmp_lt_i16_e32 vcc, s30, v6
	s_mov_b64 s[16:17], s[6:7]
                                        ; implicit-def: $sgpr37
	s_and_saveexec_b64 s[14:15], vcc
	s_xor_b64 s[14:15], exec, s[14:15]
	s_cbranch_execz .LBB0_35
; %bb.32:                               ;   in Loop: Header=BB0_3 Depth=1
	v_cmp_eq_u16_e32 vcc, s31, v6
	s_mov_b64 s[16:17], -1
                                        ; implicit-def: $sgpr37
	s_and_saveexec_b64 s[18:19], vcc
; %bb.33:                               ;   in Loop: Header=BB0_3 Depth=1
	s_mov_b32 s37, 3
	s_xor_b64 s[16:17], exec, -1
; %bb.34:                               ;   in Loop: Header=BB0_3 Depth=1
	s_or_b64 exec, exec, s[18:19]
	s_andn2_b64 s[18:19], s[6:7], exec
	s_and_b64 s[16:17], s[16:17], exec
	s_or_b64 s[16:17], s[18:19], s[16:17]
.LBB0_35:                               ;   in Loop: Header=BB0_3 Depth=1
	s_or_saveexec_b64 s[14:15], s[14:15]
	v_mov_b32_e32 v5, s37
	s_xor_b64 exec, exec, s[14:15]
; %bb.36:                               ;   in Loop: Header=BB0_3 Depth=1
	v_mov_b32_e32 v5, 3
; %bb.37:                               ;   in Loop: Header=BB0_3 Depth=1
	s_or_b64 exec, exec, s[14:15]
	s_andn2_b64 s[14:15], s[6:7], exec
	s_and_b64 s[16:17], s[16:17], exec
	s_or_b64 s[14:15], s[14:15], s[16:17]
                                        ; implicit-def: $vgpr6
.LBB0_38:                               ;   in Loop: Header=BB0_3 Depth=1
	s_andn2_saveexec_b64 s[12:13], s[12:13]
	s_cbranch_execz .LBB0_42
; %bb.39:                               ;   in Loop: Header=BB0_3 Depth=1
	v_cmp_eq_u16_e32 vcc, s33, v6
	s_mov_b64 s[16:17], -1
                                        ; implicit-def: $sgpr37
	s_and_saveexec_b64 s[18:19], vcc
; %bb.40:                               ;   in Loop: Header=BB0_3 Depth=1
	s_mov_b32 s37, 2
	s_xor_b64 s[16:17], exec, -1
; %bb.41:                               ;   in Loop: Header=BB0_3 Depth=1
	s_or_b64 exec, exec, s[18:19]
	s_andn2_b64 s[14:15], s[14:15], exec
	s_and_b64 s[16:17], s[16:17], exec
	v_mov_b32_e32 v5, s37
	s_or_b64 s[14:15], s[14:15], s[16:17]
.LBB0_42:                               ;   in Loop: Header=BB0_3 Depth=1
	s_or_b64 exec, exec, s[12:13]
	s_andn2_b64 s[12:13], s[6:7], exec
	s_and_b64 s[14:15], s[14:15], exec
	s_or_b64 s[12:13], s[12:13], s[14:15]
                                        ; implicit-def: $vgpr6
.LBB0_43:                               ;   in Loop: Header=BB0_3 Depth=1
	s_andn2_saveexec_b64 s[10:11], s[10:11]
	s_cbranch_execz .LBB0_51
; %bb.44:                               ;   in Loop: Header=BB0_3 Depth=1
	v_cmp_lt_i16_e32 vcc, s34, v6
	s_mov_b64 s[14:15], s[12:13]
                                        ; implicit-def: $sgpr37
	s_and_saveexec_b64 s[16:17], vcc
	s_xor_b64 s[16:17], exec, s[16:17]
	s_cbranch_execz .LBB0_48
; %bb.45:                               ;   in Loop: Header=BB0_3 Depth=1
	v_cmp_eq_u16_e32 vcc, s35, v6
	s_mov_b64 s[14:15], -1
                                        ; implicit-def: $sgpr37
	s_and_saveexec_b64 s[18:19], vcc
; %bb.46:                               ;   in Loop: Header=BB0_3 Depth=1
	s_mov_b32 s37, 1
	s_xor_b64 s[14:15], exec, -1
; %bb.47:                               ;   in Loop: Header=BB0_3 Depth=1
	s_or_b64 exec, exec, s[18:19]
	s_andn2_b64 s[18:19], s[12:13], exec
	s_and_b64 s[14:15], s[14:15], exec
	s_or_b64 s[14:15], s[18:19], s[14:15]
                                        ; implicit-def: $vgpr6
.LBB0_48:                               ;   in Loop: Header=BB0_3 Depth=1
	s_or_saveexec_b64 s[16:17], s[16:17]
	v_mov_b32_e32 v5, s37
	s_xor_b64 exec, exec, s[16:17]
; %bb.49:                               ;   in Loop: Header=BB0_3 Depth=1
	v_cmp_ne_u16_e32 vcc, s36, v6
	s_andn2_b64 s[14:15], s[14:15], exec
	s_and_b64 s[18:19], vcc, exec
	v_mov_b32_e32 v5, 0
	s_or_b64 s[14:15], s[14:15], s[18:19]
; %bb.50:                               ;   in Loop: Header=BB0_3 Depth=1
	s_or_b64 exec, exec, s[16:17]
	s_andn2_b64 s[12:13], s[12:13], exec
	s_and_b64 s[14:15], s[14:15], exec
	s_or_b64 s[12:13], s[12:13], s[14:15]
.LBB0_51:                               ;   in Loop: Header=BB0_3 Depth=1
	s_or_b64 exec, exec, s[10:11]
	s_andn2_b64 s[6:7], s[6:7], exec
	s_and_b64 s[10:11], s[12:13], exec
	s_or_b64 s[6:7], s[6:7], s[10:11]
	s_or_b64 exec, exec, s[8:9]
	s_and_saveexec_b64 s[8:9], s[6:7]
	s_cbranch_execz .LBB0_2
.LBB0_52:                               ;   in Loop: Header=BB0_3 Depth=1
	v_mov_b32_e32 v5, 4
	s_branch .LBB0_2
.LBB0_53:
	s_endpgm
	.section	.rodata,"a",@progbits
	.p2align	6, 0x0
	.amdhsa_kernel _Z19kernel_baseToNumberPcl
		.amdhsa_group_segment_fixed_size 0
		.amdhsa_private_segment_fixed_size 0
		.amdhsa_kernarg_size 272
		.amdhsa_user_sgpr_count 6
		.amdhsa_user_sgpr_private_segment_buffer 1
		.amdhsa_user_sgpr_dispatch_ptr 0
		.amdhsa_user_sgpr_queue_ptr 0
		.amdhsa_user_sgpr_kernarg_segment_ptr 1
		.amdhsa_user_sgpr_dispatch_id 0
		.amdhsa_user_sgpr_flat_scratch_init 0
		.amdhsa_user_sgpr_kernarg_preload_length 0
		.amdhsa_user_sgpr_kernarg_preload_offset 0
		.amdhsa_user_sgpr_private_segment_size 0
		.amdhsa_uses_dynamic_stack 0
		.amdhsa_system_sgpr_private_segment_wavefront_offset 0
		.amdhsa_system_sgpr_workgroup_id_x 1
		.amdhsa_system_sgpr_workgroup_id_y 0
		.amdhsa_system_sgpr_workgroup_id_z 0
		.amdhsa_system_sgpr_workgroup_info 0
		.amdhsa_system_vgpr_workitem_id 0
		.amdhsa_next_free_vgpr 7
		.amdhsa_next_free_sgpr 38
		.amdhsa_accum_offset 8
		.amdhsa_reserve_vcc 1
		.amdhsa_reserve_flat_scratch 0
		.amdhsa_float_round_mode_32 0
		.amdhsa_float_round_mode_16_64 0
		.amdhsa_float_denorm_mode_32 3
		.amdhsa_float_denorm_mode_16_64 3
		.amdhsa_dx10_clamp 1
		.amdhsa_ieee_mode 1
		.amdhsa_fp16_overflow 0
		.amdhsa_tg_split 0
		.amdhsa_exception_fp_ieee_invalid_op 0
		.amdhsa_exception_fp_denorm_src 0
		.amdhsa_exception_fp_ieee_div_zero 0
		.amdhsa_exception_fp_ieee_overflow 0
		.amdhsa_exception_fp_ieee_underflow 0
		.amdhsa_exception_fp_ieee_inexact 0
		.amdhsa_exception_int_div_zero 0
	.end_amdhsa_kernel
	.text
.Lfunc_end0:
	.size	_Z19kernel_baseToNumberPcl, .Lfunc_end0-_Z19kernel_baseToNumberPcl
                                        ; -- End function
	.section	.AMDGPU.csdata,"",@progbits
; Kernel info:
; codeLenInByte = 872
; NumSgprs: 42
; NumVgprs: 7
; NumAgprs: 0
; TotalNumVgprs: 7
; ScratchSize: 0
; MemoryBound: 0
; FloatMode: 240
; IeeeMode: 1
; LDSByteSize: 0 bytes/workgroup (compile time only)
; SGPRBlocks: 5
; VGPRBlocks: 0
; NumSGPRsForWavesPerEU: 42
; NumVGPRsForWavesPerEU: 7
; AccumOffset: 8
; Occupancy: 8
; WaveLimiterHint : 0
; COMPUTE_PGM_RSRC2:SCRATCH_EN: 0
; COMPUTE_PGM_RSRC2:USER_SGPR: 6
; COMPUTE_PGM_RSRC2:TRAP_HANDLER: 0
; COMPUTE_PGM_RSRC2:TGID_X_EN: 1
; COMPUTE_PGM_RSRC2:TGID_Y_EN: 0
; COMPUTE_PGM_RSRC2:TGID_Z_EN: 0
; COMPUTE_PGM_RSRC2:TIDIG_COMP_CNT: 0
; COMPUTE_PGM_RSRC3_GFX90A:ACCUM_OFFSET: 1
; COMPUTE_PGM_RSRC3_GFX90A:TG_SPLIT: 0
	.text
	.protected	_Z19kernel_compressDataPKiPKlPKcPjPii ; -- Begin function _Z19kernel_compressDataPKiPKlPKcPjPii
	.globl	_Z19kernel_compressDataPKiPKlPKcPjPii
	.p2align	8
	.type	_Z19kernel_compressDataPKiPKlPKcPjPii,@function
_Z19kernel_compressDataPKiPKlPKcPjPii:  ; @_Z19kernel_compressDataPKiPKlPKcPjPii
; %bb.0:
	s_load_dword s0, s[4:5], 0x3c
	s_load_dword s1, s[4:5], 0x28
	s_waitcnt lgkmcnt(0)
	s_and_b32 s0, s0, 0xffff
	s_mul_i32 s6, s6, s0
	v_add_u32_e32 v0, s6, v0
	v_cmp_gt_i32_e32 vcc, s1, v0
	s_and_saveexec_b64 s[0:1], vcc
	s_cbranch_execz .LBB1_12
; %bb.1:
	s_load_dwordx8 s[8:15], s[4:5], 0x0
	v_ashrrev_i32_e32 v1, 31, v0
	v_lshlrev_b64 v[2:3], 3, v[0:1]
	v_lshlrev_b64 v[0:1], 2, v[0:1]
	s_load_dwordx2 s[2:3], s[4:5], 0x20
	s_waitcnt lgkmcnt(0)
	v_mov_b32_e32 v4, s11
	v_add_co_u32_e32 v2, vcc, s10, v2
	v_addc_co_u32_e32 v3, vcc, v4, v3, vcc
	global_load_dwordx2 v[2:3], v[2:3], off
	v_mov_b32_e32 v5, s9
	v_add_co_u32_e32 v4, vcc, s8, v0
	v_addc_co_u32_e32 v5, vcc, v5, v1, vcc
	global_load_dword v6, v[4:5], off
	v_mov_b32_e32 v9, 0
	v_mov_b32_e32 v8, 0
	s_waitcnt vmcnt(1)
	v_ashrrev_i32_e32 v4, 31, v3
	v_lshrrev_b32_e32 v4, 28, v4
	v_add_co_u32_e64 v4, s[0:1], v2, v4
	v_addc_co_u32_e64 v5, s[0:1], 0, v3, s[0:1]
	s_waitcnt vmcnt(0)
	v_cmp_lt_i32_e32 vcc, 0, v6
	v_ashrrev_i64 v[4:5], 4, v[4:5]
	s_and_saveexec_b64 s[0:1], vcc
	s_cbranch_execz .LBB1_11
; %bb.2:
	v_ashrrev_i32_e32 v7, 31, v6
	v_add_co_u32_e32 v6, vcc, v2, v6
	v_addc_co_u32_e32 v7, vcc, v3, v7, vcc
	s_mov_b64 s[4:5], 0
	v_mov_b32_e32 v11, 0
	v_mov_b32_e32 v10, s13
	;; [unrolled: 1-line block ×4, first 2 shown]
	s_branch .LBB1_5
.LBB1_3:                                ;   in Loop: Header=BB1_5 Depth=1
	s_or_b64 exec, exec, s[8:9]
.LBB1_4:                                ;   in Loop: Header=BB1_5 Depth=1
	s_or_b64 exec, exec, s[6:7]
	v_add_co_u32_e32 v2, vcc, 1, v2
	v_addc_co_u32_e32 v3, vcc, 0, v3, vcc
	v_cmp_ge_i64_e32 vcc, v[2:3], v[6:7]
	s_or_b64 s[4:5], vcc, s[4:5]
	s_andn2_b64 exec, exec, s[4:5]
	s_cbranch_execz .LBB1_10
.LBB1_5:                                ; =>This Inner Loop Header: Depth=1
	v_add_co_u32_e32 v12, vcc, s12, v2
	v_addc_co_u32_e32 v13, vcc, v10, v3, vcc
	global_load_ubyte v12, v[12:13], off
	s_waitcnt vmcnt(0)
	v_cmp_lt_u16_e32 vcc, 3, v12
	s_and_saveexec_b64 s[6:7], vcc
	s_xor_b64 s[6:7], exec, s[6:7]
; %bb.6:                                ;   in Loop: Header=BB1_5 Depth=1
	v_add_u32_e32 v8, 1, v8
                                        ; implicit-def: $vgpr12
; %bb.7:                                ;   in Loop: Header=BB1_5 Depth=1
	s_andn2_saveexec_b64 s[6:7], s[6:7]
	s_cbranch_execz .LBB1_4
; %bb.8:                                ;   in Loop: Header=BB1_5 Depth=1
	v_lshlrev_b32_e32 v13, 1, v11
	v_and_b32_e32 v12, 0xffff, v12
	v_sub_u32_e32 v13, 30, v13
	v_add_u32_e32 v11, 1, v11
	v_lshl_add_u32 v9, v12, v13, v9
	v_cmp_eq_u32_e32 vcc, 16, v11
	s_and_saveexec_b64 s[8:9], vcc
	s_cbranch_execz .LBB1_3
; %bb.9:                                ;   in Loop: Header=BB1_5 Depth=1
	v_add_co_u32_e32 v12, vcc, 1, v4
	v_addc_co_u32_e32 v13, vcc, 0, v5, vcc
	v_lshlrev_b64 v[4:5], 2, v[4:5]
	v_mov_b32_e32 v11, s15
	v_add_co_u32_e32 v4, vcc, s14, v4
	v_addc_co_u32_e32 v5, vcc, v11, v5, vcc
	global_store_dword v[4:5], v9, off
	v_mov_b32_e32 v11, 0
	v_pk_mov_b32 v[4:5], v[12:13], v[12:13] op_sel:[0,1]
	v_mov_b32_e32 v9, 0
	s_branch .LBB1_3
.LBB1_10:
	s_or_b64 exec, exec, s[4:5]
.LBB1_11:
	s_or_b64 exec, exec, s[0:1]
	v_lshlrev_b64 v[2:3], 2, v[4:5]
	v_mov_b32_e32 v4, s15
	v_add_co_u32_e32 v2, vcc, s14, v2
	v_addc_co_u32_e32 v3, vcc, v4, v3, vcc
	global_store_dword v[2:3], v9, off
	v_mov_b32_e32 v2, s3
	v_add_co_u32_e32 v0, vcc, s2, v0
	v_addc_co_u32_e32 v1, vcc, v2, v1, vcc
	global_store_dword v[0:1], v8, off
.LBB1_12:
	s_endpgm
	.section	.rodata,"a",@progbits
	.p2align	6, 0x0
	.amdhsa_kernel _Z19kernel_compressDataPKiPKlPKcPjPii
		.amdhsa_group_segment_fixed_size 0
		.amdhsa_private_segment_fixed_size 0
		.amdhsa_kernarg_size 304
		.amdhsa_user_sgpr_count 6
		.amdhsa_user_sgpr_private_segment_buffer 1
		.amdhsa_user_sgpr_dispatch_ptr 0
		.amdhsa_user_sgpr_queue_ptr 0
		.amdhsa_user_sgpr_kernarg_segment_ptr 1
		.amdhsa_user_sgpr_dispatch_id 0
		.amdhsa_user_sgpr_flat_scratch_init 0
		.amdhsa_user_sgpr_kernarg_preload_length 0
		.amdhsa_user_sgpr_kernarg_preload_offset 0
		.amdhsa_user_sgpr_private_segment_size 0
		.amdhsa_uses_dynamic_stack 0
		.amdhsa_system_sgpr_private_segment_wavefront_offset 0
		.amdhsa_system_sgpr_workgroup_id_x 1
		.amdhsa_system_sgpr_workgroup_id_y 0
		.amdhsa_system_sgpr_workgroup_id_z 0
		.amdhsa_system_sgpr_workgroup_info 0
		.amdhsa_system_vgpr_workitem_id 0
		.amdhsa_next_free_vgpr 14
		.amdhsa_next_free_sgpr 16
		.amdhsa_accum_offset 16
		.amdhsa_reserve_vcc 1
		.amdhsa_reserve_flat_scratch 0
		.amdhsa_float_round_mode_32 0
		.amdhsa_float_round_mode_16_64 0
		.amdhsa_float_denorm_mode_32 3
		.amdhsa_float_denorm_mode_16_64 3
		.amdhsa_dx10_clamp 1
		.amdhsa_ieee_mode 1
		.amdhsa_fp16_overflow 0
		.amdhsa_tg_split 0
		.amdhsa_exception_fp_ieee_invalid_op 0
		.amdhsa_exception_fp_denorm_src 0
		.amdhsa_exception_fp_ieee_div_zero 0
		.amdhsa_exception_fp_ieee_overflow 0
		.amdhsa_exception_fp_ieee_underflow 0
		.amdhsa_exception_fp_ieee_inexact 0
		.amdhsa_exception_int_div_zero 0
	.end_amdhsa_kernel
	.text
.Lfunc_end1:
	.size	_Z19kernel_compressDataPKiPKlPKcPjPii, .Lfunc_end1-_Z19kernel_compressDataPKiPKlPKcPjPii
                                        ; -- End function
	.section	.AMDGPU.csdata,"",@progbits
; Kernel info:
; codeLenInByte = 456
; NumSgprs: 20
; NumVgprs: 14
; NumAgprs: 0
; TotalNumVgprs: 14
; ScratchSize: 0
; MemoryBound: 0
; FloatMode: 240
; IeeeMode: 1
; LDSByteSize: 0 bytes/workgroup (compile time only)
; SGPRBlocks: 2
; VGPRBlocks: 1
; NumSGPRsForWavesPerEU: 20
; NumVGPRsForWavesPerEU: 14
; AccumOffset: 16
; Occupancy: 8
; WaveLimiterHint : 0
; COMPUTE_PGM_RSRC2:SCRATCH_EN: 0
; COMPUTE_PGM_RSRC2:USER_SGPR: 6
; COMPUTE_PGM_RSRC2:TRAP_HANDLER: 0
; COMPUTE_PGM_RSRC2:TGID_X_EN: 1
; COMPUTE_PGM_RSRC2:TGID_Y_EN: 0
; COMPUTE_PGM_RSRC2:TGID_Z_EN: 0
; COMPUTE_PGM_RSRC2:TIDIG_COMP_CNT: 0
; COMPUTE_PGM_RSRC3_GFX90A:ACCUM_OFFSET: 3
; COMPUTE_PGM_RSRC3_GFX90A:TG_SPLIT: 0
	.text
	.protected	_Z19kernel_createIndex4PKcPKiPKlPtS5_PlPii ; -- Begin function _Z19kernel_createIndex4PKcPKiPKlPtS5_PlPii
	.globl	_Z19kernel_createIndex4PKcPKiPKlPtS5_PlPii
	.p2align	8
	.type	_Z19kernel_createIndex4PKcPKiPKlPtS5_PlPii,@function
_Z19kernel_createIndex4PKcPKiPKlPtS5_PlPii: ; @_Z19kernel_createIndex4PKcPKiPKlPtS5_PlPii
; %bb.0:
	s_load_dword s0, s[4:5], 0x4c
	s_load_dword s1, s[4:5], 0x38
	s_waitcnt lgkmcnt(0)
	s_and_b32 s0, s0, 0xffff
	s_mul_i32 s6, s6, s0
	v_add_u32_e32 v4, s6, v0
	v_cmp_gt_i32_e32 vcc, s1, v4
	s_and_saveexec_b64 s[0:1], vcc
	s_cbranch_execz .LBB2_20
; %bb.1:
	s_load_dwordx8 s[8:15], s[4:5], 0x0
	v_ashrrev_i32_e32 v5, 31, v4
	v_lshlrev_b64 v[0:1], 2, v[4:5]
	v_mov_b32_e32 v3, 0
	v_pk_mov_b32 v[8:9], 0, 0
	s_waitcnt lgkmcnt(0)
	v_mov_b32_e32 v2, s11
	v_add_co_u32_e32 v0, vcc, s10, v0
	v_addc_co_u32_e32 v1, vcc, v2, v1, vcc
	global_load_dword v12, v[0:1], off
	v_mov_b32_e32 v2, 0
	v_mov_b32_e32 v1, 0
	v_lshlrev_b64 v[6:7], 3, v[4:5]
	v_mov_b32_e32 v0, 0
	s_waitcnt vmcnt(0)
	v_cmp_lt_i32_e32 vcc, 0, v12
	s_and_saveexec_b64 s[0:1], vcc
	s_cbranch_execz .LBB2_19
; %bb.2:
	v_mov_b32_e32 v1, s13
	v_add_co_u32_e32 v0, vcc, s12, v6
	v_addc_co_u32_e32 v1, vcc, v1, v7, vcc
	global_load_dword v10, v[0:1], off
	v_mov_b32_e32 v3, s9
	v_mov_b32_e32 v19, s15
	s_mov_b64 s[2:3], 0
	v_mov_b32_e32 v8, 0
	v_mov_b32_e32 v18, 4
	;; [unrolled: 1-line block ×8, first 2 shown]
	s_waitcnt vmcnt(0)
	v_ashrrev_i32_e32 v11, 31, v10
	v_add_u32_e32 v17, v12, v10
	v_add_co_u32_e32 v12, vcc, s8, v10
	v_addc_co_u32_e32 v13, vcc, v3, v11, vcc
	v_lshlrev_b64 v[14:15], 1, v[10:11]
	v_add_co_u32_e32 v14, vcc, s14, v14
	v_addc_co_u32_e32 v15, vcc, v19, v15, vcc
	v_mov_b32_e32 v3, 0
	s_branch .LBB2_5
.LBB2_3:                                ;   in Loop: Header=BB2_5 Depth=1
	s_or_b64 exec, exec, s[8:9]
.LBB2_4:                                ;   in Loop: Header=BB2_5 Depth=1
	s_or_b64 exec, exec, s[6:7]
	v_lshlrev_b16_e32 v19, 6, v18
	v_lshlrev_b16_e32 v20, 4, v16
	v_and_b32_e32 v19, 0xc0, v19
	v_and_b32_e32 v20, 48, v20
	v_lshlrev_b16_e32 v21, 2, v9
	v_or_b32_e32 v19, v19, v20
	v_and_b32_e32 v21, 12, v21
	v_max_i16_sdwa v20, sext(v16), v5 dst_sel:DWORD dst_unused:UNUSED_PAD src0_sel:BYTE_0 src1_sel:DWORD
	v_or_b32_e32 v19, v19, v21
	v_max_i16_sdwa v21, sext(v9), v5 dst_sel:DWORD dst_unused:UNUSED_PAD src0_sel:BYTE_0 src1_sel:DWORD
	v_and_b32_e32 v22, 3, v11
	v_max_i16_sdwa v18, sext(v18), v5 dst_sel:DWORD dst_unused:UNUSED_PAD src0_sel:BYTE_0 src1_sel:DWORD
	v_or_b32_e32 v19, v19, v22
	v_max_i16_sdwa v22, sext(v11), v5 dst_sel:DWORD dst_unused:UNUSED_PAD src0_sel:BYTE_0 src1_sel:DWORD
	v_add_u16_e32 v20, v20, v21
	v_add3_u32 v18, v18, v20, -12
	v_sub_u32_e32 v20, 0, v22
	v_cmp_eq_u32_e32 vcc, v18, v20
	v_cndmask_b32_e32 v18, -1, v19, vcc
	v_addc_co_u32_e32 v8, vcc, 0, v8, vcc
	v_add_co_u32_e32 v12, vcc, 1, v12
	v_addc_co_u32_e32 v13, vcc, 0, v13, vcc
	global_store_short v[14:15], v18, off
	v_add_co_u32_e32 v14, vcc, 2, v14
	v_add_u32_e32 v10, 1, v10
	v_addc_co_u32_e32 v15, vcc, 0, v15, vcc
	v_cmp_ge_i32_e32 vcc, v10, v17
	s_or_b64 s[2:3], vcc, s[2:3]
	v_mov_b32_e32 v18, v16
	v_mov_b32_e32 v16, v9
	;; [unrolled: 1-line block ×3, first 2 shown]
	s_andn2_b64 exec, exec, s[2:3]
	s_cbranch_execz .LBB2_18
.LBB2_5:                                ; =>This Inner Loop Header: Depth=1
	global_load_ubyte v11, v[12:13], off
	s_waitcnt vmcnt(0)
	v_cmp_lt_i16_e32 vcc, 1, v11
	s_and_saveexec_b64 s[6:7], vcc
	s_xor_b64 s[6:7], exec, s[6:7]
	s_cbranch_execz .LBB2_13
; %bb.6:                                ;   in Loop: Header=BB2_5 Depth=1
	v_cmp_lt_i16_e32 vcc, 2, v11
	s_and_saveexec_b64 s[8:9], vcc
	s_xor_b64 s[8:9], exec, s[8:9]
	s_cbranch_execz .LBB2_10
; %bb.7:                                ;   in Loop: Header=BB2_5 Depth=1
	v_cmp_eq_u16_e32 vcc, 3, v11
	s_and_saveexec_b64 s[10:11], vcc
; %bb.8:                                ;   in Loop: Header=BB2_5 Depth=1
	v_add_u32_e32 v3, 1, v3
; %bb.9:                                ;   in Loop: Header=BB2_5 Depth=1
	s_or_b64 exec, exec, s[10:11]
.LBB2_10:                               ;   in Loop: Header=BB2_5 Depth=1
	s_andn2_saveexec_b64 s[8:9], s[8:9]
; %bb.11:                               ;   in Loop: Header=BB2_5 Depth=1
	v_add_u32_e32 v2, 1, v2
; %bb.12:                               ;   in Loop: Header=BB2_5 Depth=1
	s_or_b64 exec, exec, s[8:9]
.LBB2_13:                               ;   in Loop: Header=BB2_5 Depth=1
	s_andn2_saveexec_b64 s[6:7], s[6:7]
	s_cbranch_execz .LBB2_4
; %bb.14:                               ;   in Loop: Header=BB2_5 Depth=1
	v_cmp_lt_i16_e32 vcc, 0, v11
	s_and_saveexec_b64 s[8:9], vcc
	s_xor_b64 s[8:9], exec, s[8:9]
; %bb.15:                               ;   in Loop: Header=BB2_5 Depth=1
	v_add_u32_e32 v1, 1, v1
; %bb.16:                               ;   in Loop: Header=BB2_5 Depth=1
	s_andn2_saveexec_b64 s[8:9], s[8:9]
	s_cbranch_execz .LBB2_3
; %bb.17:                               ;   in Loop: Header=BB2_5 Depth=1
	v_add_u32_e32 v0, 1, v0
	s_branch .LBB2_3
.LBB2_18:
	s_or_b64 exec, exec, s[2:3]
	v_mov_b32_e32 v9, 0
.LBB2_19:
	s_or_b64 exec, exec, s[0:1]
	s_load_dwordx4 s[0:3], s[4:5], 0x28
	v_lshlrev_b32_e32 v4, 2, v4
	s_waitcnt lgkmcnt(0)
	v_mov_b32_e32 v5, s1
	v_add_co_u32_e32 v6, vcc, s0, v6
	v_addc_co_u32_e32 v7, vcc, v5, v7, vcc
	v_ashrrev_i32_e32 v5, 31, v4
	v_lshlrev_b64 v[4:5], 2, v[4:5]
	global_store_dwordx2 v[6:7], v[8:9], off
	v_mov_b32_e32 v6, s3
	v_add_co_u32_e32 v4, vcc, s2, v4
	v_addc_co_u32_e32 v5, vcc, v6, v5, vcc
	global_store_dwordx4 v[4:5], v[0:3], off
.LBB2_20:
	s_endpgm
	.section	.rodata,"a",@progbits
	.p2align	6, 0x0
	.amdhsa_kernel _Z19kernel_createIndex4PKcPKiPKlPtS5_PlPii
		.amdhsa_group_segment_fixed_size 0
		.amdhsa_private_segment_fixed_size 0
		.amdhsa_kernarg_size 320
		.amdhsa_user_sgpr_count 6
		.amdhsa_user_sgpr_private_segment_buffer 1
		.amdhsa_user_sgpr_dispatch_ptr 0
		.amdhsa_user_sgpr_queue_ptr 0
		.amdhsa_user_sgpr_kernarg_segment_ptr 1
		.amdhsa_user_sgpr_dispatch_id 0
		.amdhsa_user_sgpr_flat_scratch_init 0
		.amdhsa_user_sgpr_kernarg_preload_length 0
		.amdhsa_user_sgpr_kernarg_preload_offset 0
		.amdhsa_user_sgpr_private_segment_size 0
		.amdhsa_uses_dynamic_stack 0
		.amdhsa_system_sgpr_private_segment_wavefront_offset 0
		.amdhsa_system_sgpr_workgroup_id_x 1
		.amdhsa_system_sgpr_workgroup_id_y 0
		.amdhsa_system_sgpr_workgroup_id_z 0
		.amdhsa_system_sgpr_workgroup_info 0
		.amdhsa_system_vgpr_workitem_id 0
		.amdhsa_next_free_vgpr 23
		.amdhsa_next_free_sgpr 16
		.amdhsa_accum_offset 24
		.amdhsa_reserve_vcc 1
		.amdhsa_reserve_flat_scratch 0
		.amdhsa_float_round_mode_32 0
		.amdhsa_float_round_mode_16_64 0
		.amdhsa_float_denorm_mode_32 3
		.amdhsa_float_denorm_mode_16_64 3
		.amdhsa_dx10_clamp 1
		.amdhsa_ieee_mode 1
		.amdhsa_fp16_overflow 0
		.amdhsa_tg_split 0
		.amdhsa_exception_fp_ieee_invalid_op 0
		.amdhsa_exception_fp_denorm_src 0
		.amdhsa_exception_fp_ieee_div_zero 0
		.amdhsa_exception_fp_ieee_overflow 0
		.amdhsa_exception_fp_ieee_underflow 0
		.amdhsa_exception_fp_ieee_inexact 0
		.amdhsa_exception_int_div_zero 0
	.end_amdhsa_kernel
	.text
.Lfunc_end2:
	.size	_Z19kernel_createIndex4PKcPKiPKlPtS5_PlPii, .Lfunc_end2-_Z19kernel_createIndex4PKcPKiPKlPtS5_PlPii
                                        ; -- End function
	.section	.AMDGPU.csdata,"",@progbits
; Kernel info:
; codeLenInByte = 612
; NumSgprs: 20
; NumVgprs: 23
; NumAgprs: 0
; TotalNumVgprs: 23
; ScratchSize: 0
; MemoryBound: 0
; FloatMode: 240
; IeeeMode: 1
; LDSByteSize: 0 bytes/workgroup (compile time only)
; SGPRBlocks: 2
; VGPRBlocks: 2
; NumSGPRsForWavesPerEU: 20
; NumVGPRsForWavesPerEU: 23
; AccumOffset: 24
; Occupancy: 8
; WaveLimiterHint : 0
; COMPUTE_PGM_RSRC2:SCRATCH_EN: 0
; COMPUTE_PGM_RSRC2:USER_SGPR: 6
; COMPUTE_PGM_RSRC2:TRAP_HANDLER: 0
; COMPUTE_PGM_RSRC2:TGID_X_EN: 1
; COMPUTE_PGM_RSRC2:TGID_Y_EN: 0
; COMPUTE_PGM_RSRC2:TGID_Z_EN: 0
; COMPUTE_PGM_RSRC2:TIDIG_COMP_CNT: 0
; COMPUTE_PGM_RSRC3_GFX90A:ACCUM_OFFSET: 5
; COMPUTE_PGM_RSRC3_GFX90A:TG_SPLIT: 0
	.text
	.protected	_Z19kernel_createIndex5PKcPKiPKlPtS5_PlPii ; -- Begin function _Z19kernel_createIndex5PKcPKiPKlPtS5_PlPii
	.globl	_Z19kernel_createIndex5PKcPKiPKlPtS5_PlPii
	.p2align	8
	.type	_Z19kernel_createIndex5PKcPKiPKlPtS5_PlPii,@function
_Z19kernel_createIndex5PKcPKiPKlPtS5_PlPii: ; @_Z19kernel_createIndex5PKcPKiPKlPtS5_PlPii
; %bb.0:
	s_load_dword s0, s[4:5], 0x4c
	s_load_dword s1, s[4:5], 0x38
	s_waitcnt lgkmcnt(0)
	s_and_b32 s0, s0, 0xffff
	s_mul_i32 s6, s6, s0
	v_add_u32_e32 v4, s6, v0
	v_cmp_gt_i32_e32 vcc, s1, v4
	s_and_saveexec_b64 s[0:1], vcc
	s_cbranch_execz .LBB3_20
; %bb.1:
	s_load_dwordx8 s[8:15], s[4:5], 0x0
	v_ashrrev_i32_e32 v5, 31, v4
	v_lshlrev_b64 v[0:1], 2, v[4:5]
	v_mov_b32_e32 v3, 0
	v_pk_mov_b32 v[8:9], 0, 0
	s_waitcnt lgkmcnt(0)
	v_mov_b32_e32 v2, s11
	v_add_co_u32_e32 v0, vcc, s10, v0
	v_addc_co_u32_e32 v1, vcc, v2, v1, vcc
	global_load_dword v12, v[0:1], off
	v_mov_b32_e32 v2, 0
	v_mov_b32_e32 v1, 0
	v_lshlrev_b64 v[6:7], 3, v[4:5]
	v_mov_b32_e32 v0, 0
	s_waitcnt vmcnt(0)
	v_cmp_lt_i32_e32 vcc, 0, v12
	s_and_saveexec_b64 s[0:1], vcc
	s_cbranch_execz .LBB3_19
; %bb.2:
	v_mov_b32_e32 v1, s13
	v_add_co_u32_e32 v0, vcc, s12, v6
	v_addc_co_u32_e32 v1, vcc, v1, v7, vcc
	global_load_dword v10, v[0:1], off
	v_mov_b32_e32 v3, s9
	v_mov_b32_e32 v21, s15
	s_mov_b64 s[2:3], 0
	v_mov_b32_e32 v8, 0
	v_mov_b32_e32 v20, 4
	;; [unrolled: 1-line block ×10, first 2 shown]
	s_waitcnt vmcnt(0)
	v_ashrrev_i32_e32 v11, 31, v10
	v_add_u32_e32 v18, v12, v10
	v_add_co_u32_e32 v12, vcc, s8, v10
	v_addc_co_u32_e32 v13, vcc, v3, v11, vcc
	v_lshlrev_b64 v[14:15], 1, v[10:11]
	v_add_co_u32_e32 v14, vcc, s14, v14
	v_addc_co_u32_e32 v15, vcc, v21, v15, vcc
	v_mov_b32_e32 v3, 0
	s_branch .LBB3_5
.LBB3_3:                                ;   in Loop: Header=BB3_5 Depth=1
	s_or_b64 exec, exec, s[8:9]
.LBB3_4:                                ;   in Loop: Header=BB3_5 Depth=1
	s_or_b64 exec, exec, s[6:7]
	v_lshlrev_b16_e32 v21, 8, v17
	v_or_b32_sdwa v21, v19, v21 dst_sel:DWORD dst_unused:UNUSED_PAD src0_sel:BYTE_0 src1_sel:DWORD
	v_lshlrev_b32_e32 v22, 16, v21
	v_lshlrev_b16_e32 v20, 8, v20
	v_or_b32_e32 v20, v20, v22
	v_lshrrev_b32_e32 v20, 8, v20
	v_lshlrev_b16_e32 v23, 8, v19
	v_lshlrev_b16_e32 v24, 8, v20
	;; [unrolled: 1-line block ×3, first 2 shown]
	v_lshrrev_b32_e32 v22, 24, v22
	v_and_b32_e32 v24, 0x300, v24
	v_and_b32_e32 v19, 0xc0, v19
	v_or_b32_e32 v19, v24, v19
	v_lshlrev_b16_e32 v24, 4, v22
	v_and_b32_e32 v24, 48, v24
	v_or_b32_e32 v19, v19, v24
	v_lshlrev_b16_e32 v24, 2, v11
	v_max_i16_sdwa v21, sext(v21), v5 dst_sel:DWORD dst_unused:UNUSED_PAD src0_sel:BYTE_0 src1_sel:DWORD
	v_max_i16_sdwa v22, sext(v22), v5 dst_sel:DWORD dst_unused:UNUSED_PAD src0_sel:BYTE_0 src1_sel:DWORD
	v_and_b32_e32 v24, 12, v24
	v_max_i16_sdwa v20, sext(v20), v5 dst_sel:DWORD dst_unused:UNUSED_PAD src0_sel:BYTE_0 src1_sel:DWORD
	v_or_b32_e32 v19, v19, v24
	v_and_b32_e32 v25, 3, v16
	v_add_u16_e32 v21, v21, v22
	v_max_i16_sdwa v24, sext(v11), v5 dst_sel:DWORD dst_unused:UNUSED_PAD src0_sel:BYTE_0 src1_sel:DWORD
	v_or_b32_e32 v19, v19, v25
	v_max_i16_sdwa v25, sext(v16), v5 dst_sel:DWORD dst_unused:UNUSED_PAD src0_sel:BYTE_0 src1_sel:DWORD
	v_add_u32_e32 v20, v20, v21
	v_add3_u32 v20, v20, v24, -15
	v_sub_u32_e32 v21, 0, v25
	v_cmp_eq_u32_e32 vcc, v20, v21
	v_cndmask_b32_e32 v19, -1, v19, vcc
	v_addc_co_u32_e32 v8, vcc, 0, v8, vcc
	v_lshlrev_b16_e32 v11, 8, v11
	v_add_co_u32_e32 v12, vcc, 1, v12
	global_store_short v[14:15], v19, off
	v_add_u32_e32 v10, 1, v10
	v_or_b32_sdwa v19, v17, v11 dst_sel:DWORD dst_unused:UNUSED_PAD src0_sel:BYTE_0 src1_sel:DWORD
	v_addc_co_u32_e32 v13, vcc, 0, v13, vcc
	v_lshrrev_b32_sdwa v20, v9, v23 dst_sel:BYTE_1 dst_unused:UNUSED_PAD src0_sel:DWORD src1_sel:DWORD
	v_lshlrev_b32_e32 v11, 16, v19
	v_cmp_ge_i32_e32 vcc, v10, v18
	v_lshrrev_b32_e32 v17, 24, v11
	v_or_b32_e32 v11, v20, v11
	s_or_b64 s[2:3], vcc, s[2:3]
	v_add_co_u32_e32 v14, vcc, 2, v14
	v_lshrrev_b32_e32 v20, 8, v11
	v_addc_co_u32_e32 v15, vcc, 0, v15, vcc
	s_andn2_b64 exec, exec, s[2:3]
	s_cbranch_execz .LBB3_18
.LBB3_5:                                ; =>This Inner Loop Header: Depth=1
	v_mov_b32_e32 v11, v16
	global_load_ubyte v16, v[12:13], off
	s_waitcnt vmcnt(0)
	v_cmp_lt_i16_e32 vcc, 1, v16
	s_and_saveexec_b64 s[6:7], vcc
	s_xor_b64 s[6:7], exec, s[6:7]
	s_cbranch_execz .LBB3_13
; %bb.6:                                ;   in Loop: Header=BB3_5 Depth=1
	v_cmp_lt_i16_e32 vcc, 2, v16
	s_and_saveexec_b64 s[8:9], vcc
	s_xor_b64 s[8:9], exec, s[8:9]
	s_cbranch_execz .LBB3_10
; %bb.7:                                ;   in Loop: Header=BB3_5 Depth=1
	v_cmp_eq_u16_e32 vcc, 3, v16
	s_and_saveexec_b64 s[10:11], vcc
; %bb.8:                                ;   in Loop: Header=BB3_5 Depth=1
	v_add_u32_e32 v3, 1, v3
; %bb.9:                                ;   in Loop: Header=BB3_5 Depth=1
	s_or_b64 exec, exec, s[10:11]
.LBB3_10:                               ;   in Loop: Header=BB3_5 Depth=1
	s_andn2_saveexec_b64 s[8:9], s[8:9]
; %bb.11:                               ;   in Loop: Header=BB3_5 Depth=1
	v_add_u32_e32 v2, 1, v2
; %bb.12:                               ;   in Loop: Header=BB3_5 Depth=1
	s_or_b64 exec, exec, s[8:9]
.LBB3_13:                               ;   in Loop: Header=BB3_5 Depth=1
	s_andn2_saveexec_b64 s[6:7], s[6:7]
	s_cbranch_execz .LBB3_4
; %bb.14:                               ;   in Loop: Header=BB3_5 Depth=1
	v_cmp_lt_i16_e32 vcc, 0, v16
	s_and_saveexec_b64 s[8:9], vcc
	s_xor_b64 s[8:9], exec, s[8:9]
; %bb.15:                               ;   in Loop: Header=BB3_5 Depth=1
	v_add_u32_e32 v1, 1, v1
; %bb.16:                               ;   in Loop: Header=BB3_5 Depth=1
	s_andn2_saveexec_b64 s[8:9], s[8:9]
	s_cbranch_execz .LBB3_3
; %bb.17:                               ;   in Loop: Header=BB3_5 Depth=1
	v_add_u32_e32 v0, 1, v0
	s_branch .LBB3_3
.LBB3_18:
	s_or_b64 exec, exec, s[2:3]
	v_mov_b32_e32 v9, 0
.LBB3_19:
	s_or_b64 exec, exec, s[0:1]
	s_load_dwordx4 s[0:3], s[4:5], 0x28
	v_lshlrev_b32_e32 v4, 2, v4
	s_waitcnt lgkmcnt(0)
	v_mov_b32_e32 v5, s1
	v_add_co_u32_e32 v6, vcc, s0, v6
	v_addc_co_u32_e32 v7, vcc, v5, v7, vcc
	v_ashrrev_i32_e32 v5, 31, v4
	v_lshlrev_b64 v[4:5], 2, v[4:5]
	global_store_dwordx2 v[6:7], v[8:9], off
	v_mov_b32_e32 v6, s3
	v_add_co_u32_e32 v4, vcc, s2, v4
	v_addc_co_u32_e32 v5, vcc, v6, v5, vcc
	global_store_dwordx4 v[4:5], v[0:3], off
.LBB3_20:
	s_endpgm
	.section	.rodata,"a",@progbits
	.p2align	6, 0x0
	.amdhsa_kernel _Z19kernel_createIndex5PKcPKiPKlPtS5_PlPii
		.amdhsa_group_segment_fixed_size 0
		.amdhsa_private_segment_fixed_size 0
		.amdhsa_kernarg_size 320
		.amdhsa_user_sgpr_count 6
		.amdhsa_user_sgpr_private_segment_buffer 1
		.amdhsa_user_sgpr_dispatch_ptr 0
		.amdhsa_user_sgpr_queue_ptr 0
		.amdhsa_user_sgpr_kernarg_segment_ptr 1
		.amdhsa_user_sgpr_dispatch_id 0
		.amdhsa_user_sgpr_flat_scratch_init 0
		.amdhsa_user_sgpr_kernarg_preload_length 0
		.amdhsa_user_sgpr_kernarg_preload_offset 0
		.amdhsa_user_sgpr_private_segment_size 0
		.amdhsa_uses_dynamic_stack 0
		.amdhsa_system_sgpr_private_segment_wavefront_offset 0
		.amdhsa_system_sgpr_workgroup_id_x 1
		.amdhsa_system_sgpr_workgroup_id_y 0
		.amdhsa_system_sgpr_workgroup_id_z 0
		.amdhsa_system_sgpr_workgroup_info 0
		.amdhsa_system_vgpr_workitem_id 0
		.amdhsa_next_free_vgpr 26
		.amdhsa_next_free_sgpr 16
		.amdhsa_accum_offset 28
		.amdhsa_reserve_vcc 1
		.amdhsa_reserve_flat_scratch 0
		.amdhsa_float_round_mode_32 0
		.amdhsa_float_round_mode_16_64 0
		.amdhsa_float_denorm_mode_32 3
		.amdhsa_float_denorm_mode_16_64 3
		.amdhsa_dx10_clamp 1
		.amdhsa_ieee_mode 1
		.amdhsa_fp16_overflow 0
		.amdhsa_tg_split 0
		.amdhsa_exception_fp_ieee_invalid_op 0
		.amdhsa_exception_fp_denorm_src 0
		.amdhsa_exception_fp_ieee_div_zero 0
		.amdhsa_exception_fp_ieee_overflow 0
		.amdhsa_exception_fp_ieee_underflow 0
		.amdhsa_exception_fp_ieee_inexact 0
		.amdhsa_exception_int_div_zero 0
	.end_amdhsa_kernel
	.text
.Lfunc_end3:
	.size	_Z19kernel_createIndex5PKcPKiPKlPtS5_PlPii, .Lfunc_end3-_Z19kernel_createIndex5PKcPKiPKlPtS5_PlPii
                                        ; -- End function
	.section	.AMDGPU.csdata,"",@progbits
; Kernel info:
; codeLenInByte = 712
; NumSgprs: 20
; NumVgprs: 26
; NumAgprs: 0
; TotalNumVgprs: 26
; ScratchSize: 0
; MemoryBound: 0
; FloatMode: 240
; IeeeMode: 1
; LDSByteSize: 0 bytes/workgroup (compile time only)
; SGPRBlocks: 2
; VGPRBlocks: 3
; NumSGPRsForWavesPerEU: 20
; NumVGPRsForWavesPerEU: 26
; AccumOffset: 28
; Occupancy: 8
; WaveLimiterHint : 0
; COMPUTE_PGM_RSRC2:SCRATCH_EN: 0
; COMPUTE_PGM_RSRC2:USER_SGPR: 6
; COMPUTE_PGM_RSRC2:TRAP_HANDLER: 0
; COMPUTE_PGM_RSRC2:TGID_X_EN: 1
; COMPUTE_PGM_RSRC2:TGID_Y_EN: 0
; COMPUTE_PGM_RSRC2:TGID_Z_EN: 0
; COMPUTE_PGM_RSRC2:TIDIG_COMP_CNT: 0
; COMPUTE_PGM_RSRC3_GFX90A:ACCUM_OFFSET: 6
; COMPUTE_PGM_RSRC3_GFX90A:TG_SPLIT: 0
	.text
	.protected	_Z19kernel_createIndex6PKcPKiPKlPtS5_PlPii ; -- Begin function _Z19kernel_createIndex6PKcPKiPKlPtS5_PlPii
	.globl	_Z19kernel_createIndex6PKcPKiPKlPtS5_PlPii
	.p2align	8
	.type	_Z19kernel_createIndex6PKcPKiPKlPtS5_PlPii,@function
_Z19kernel_createIndex6PKcPKiPKlPtS5_PlPii: ; @_Z19kernel_createIndex6PKcPKiPKlPtS5_PlPii
; %bb.0:
	s_load_dword s0, s[4:5], 0x4c
	s_load_dword s1, s[4:5], 0x38
	s_waitcnt lgkmcnt(0)
	s_and_b32 s0, s0, 0xffff
	s_mul_i32 s6, s6, s0
	v_add_u32_e32 v4, s6, v0
	v_cmp_gt_i32_e32 vcc, s1, v4
	s_and_saveexec_b64 s[0:1], vcc
	s_cbranch_execz .LBB4_20
; %bb.1:
	s_load_dwordx8 s[8:15], s[4:5], 0x0
	v_ashrrev_i32_e32 v5, 31, v4
	v_lshlrev_b64 v[0:1], 2, v[4:5]
	v_mov_b32_e32 v3, 0
	v_pk_mov_b32 v[8:9], 0, 0
	s_waitcnt lgkmcnt(0)
	v_mov_b32_e32 v2, s11
	v_add_co_u32_e32 v0, vcc, s10, v0
	v_addc_co_u32_e32 v1, vcc, v2, v1, vcc
	global_load_dword v12, v[0:1], off
	v_mov_b32_e32 v2, 0
	v_mov_b32_e32 v1, 0
	v_lshlrev_b64 v[6:7], 3, v[4:5]
	v_mov_b32_e32 v0, 0
	s_waitcnt vmcnt(0)
	v_cmp_lt_i32_e32 vcc, 0, v12
	s_and_saveexec_b64 s[0:1], vcc
	s_cbranch_execz .LBB4_19
; %bb.2:
	v_mov_b32_e32 v1, s13
	v_add_co_u32_e32 v0, vcc, s12, v6
	v_addc_co_u32_e32 v1, vcc, v1, v7, vcc
	global_load_dword v10, v[0:1], off
	v_mov_b32_e32 v3, s9
	v_mov_b32_e32 v22, s15
	s_mov_b64 s[2:3], 0
	v_mov_b32_e32 v8, 0
	v_mov_b32_e32 v19, 4
	;; [unrolled: 1-line block ×4, first 2 shown]
	s_movk_i32 s12, 0xffee
	v_mov_b32_e32 v5, 3
	v_mov_b32_e32 v9, 8
	;; [unrolled: 1-line block ×7, first 2 shown]
	s_waitcnt vmcnt(0)
	v_ashrrev_i32_e32 v11, 31, v10
	v_add_u32_e32 v18, v12, v10
	v_add_co_u32_e32 v12, vcc, s8, v10
	v_addc_co_u32_e32 v13, vcc, v3, v11, vcc
	v_lshlrev_b64 v[14:15], 1, v[10:11]
	v_add_co_u32_e32 v14, vcc, s14, v14
	v_addc_co_u32_e32 v15, vcc, v22, v15, vcc
	v_mov_b32_e32 v3, 0
	s_branch .LBB4_5
.LBB4_3:                                ;   in Loop: Header=BB4_5 Depth=1
	s_or_b64 exec, exec, s[8:9]
.LBB4_4:                                ;   in Loop: Header=BB4_5 Depth=1
	s_or_b64 exec, exec, s[6:7]
	v_lshlrev_b16_e32 v22, 8, v17
	v_or_b32_sdwa v22, v21, v22 dst_sel:DWORD dst_unused:UNUSED_PAD src0_sel:BYTE_0 src1_sel:DWORD
	v_lshlrev_b32_e32 v23, 16, v22
	v_lshlrev_b16_e32 v19, 8, v19
	v_or_b32_e32 v19, v19, v23
	v_lshrrev_b32_e32 v19, 8, v19
	v_lshlrev_b16_e32 v21, 8, v21
	v_lshlrev_b16_e32 v25, 10, v19
	v_lshrrev_b32_e32 v23, 24, v23
	v_and_b32_e32 v25, 0xc00, v25
	v_and_b32_e32 v26, 0x300, v21
	v_or_b32_e32 v25, v25, v26
	v_lshlrev_b16_e32 v26, 6, v23
	v_and_b32_e32 v26, 0xc0, v26
	v_or_b32_e32 v25, v25, v26
	v_lshlrev_b16_e32 v26, 4, v20
	v_and_b32_e32 v26, 48, v26
	v_or_b32_e32 v25, v25, v26
	v_lshlrev_b16_e32 v26, 2, v11
	v_max_i16_sdwa v22, sext(v22), v5 dst_sel:DWORD dst_unused:UNUSED_PAD src0_sel:BYTE_0 src1_sel:DWORD
	v_max_i16_sdwa v23, sext(v23), v5 dst_sel:DWORD dst_unused:UNUSED_PAD src0_sel:BYTE_0 src1_sel:DWORD
	v_and_b32_e32 v26, 12, v26
	v_lshlrev_b16_e32 v24, 8, v20
	v_max_i16_sdwa v19, sext(v19), v5 dst_sel:DWORD dst_unused:UNUSED_PAD src0_sel:BYTE_0 src1_sel:DWORD
	v_max_i16_sdwa v20, sext(v20), v5 dst_sel:DWORD dst_unused:UNUSED_PAD src0_sel:BYTE_0 src1_sel:DWORD
	v_or_b32_e32 v25, v25, v26
	v_max_i16_sdwa v26, sext(v11), v5 dst_sel:DWORD dst_unused:UNUSED_PAD src0_sel:BYTE_0 src1_sel:DWORD
	v_and_b32_e32 v27, 3, v16
	v_add_u16_e32 v22, v22, v23
	v_or_b32_e32 v25, v25, v27
	v_max_i16_sdwa v27, sext(v16), v5 dst_sel:DWORD dst_unused:UNUSED_PAD src0_sel:BYTE_0 src1_sel:DWORD
	v_add_u32_e32 v19, v19, v22
	v_add_u16_e32 v20, v20, v26
	v_add3_u32 v19, v19, v20, s12
	v_sub_u32_e32 v20, 0, v27
	v_cmp_eq_u32_e32 vcc, v19, v20
	v_cndmask_b32_e32 v19, -1, v25, vcc
	v_addc_co_u32_e32 v8, vcc, 0, v8, vcc
	v_add_co_u32_e32 v12, vcc, 1, v12
	v_lshrrev_b32_sdwa v20, v9, v24 dst_sel:BYTE_1 dst_unused:UNUSED_PAD src0_sel:DWORD src1_sel:DWORD
	v_addc_co_u32_e32 v13, vcc, 0, v13, vcc
	global_store_short v[14:15], v19, off
	v_lshrrev_b32_sdwa v19, v9, v21 dst_sel:BYTE_1 dst_unused:UNUSED_PAD src0_sel:DWORD src1_sel:DWORD
	v_or_b32_sdwa v21, v17, v20 dst_sel:DWORD dst_unused:UNUSED_PAD src0_sel:BYTE_0 src1_sel:DWORD
	v_add_co_u32_e32 v14, vcc, 2, v14
	v_add_u32_e32 v10, 1, v10
	v_lshlrev_b32_e32 v20, 16, v21
	v_addc_co_u32_e32 v15, vcc, 0, v15, vcc
	v_or_b32_e32 v19, v19, v20
	v_cmp_ge_i32_e32 vcc, v10, v18
	v_lshrrev_b32_e32 v17, 24, v20
	v_lshrrev_b32_e32 v19, 8, v19
	s_or_b64 s[2:3], vcc, s[2:3]
	v_mov_b32_e32 v20, v11
	s_andn2_b64 exec, exec, s[2:3]
	s_cbranch_execz .LBB4_18
.LBB4_5:                                ; =>This Inner Loop Header: Depth=1
	v_mov_b32_e32 v11, v16
	global_load_ubyte v16, v[12:13], off
	s_waitcnt vmcnt(0)
	v_cmp_lt_i16_e32 vcc, 1, v16
	s_and_saveexec_b64 s[6:7], vcc
	s_xor_b64 s[6:7], exec, s[6:7]
	s_cbranch_execz .LBB4_13
; %bb.6:                                ;   in Loop: Header=BB4_5 Depth=1
	v_cmp_lt_i16_e32 vcc, 2, v16
	s_and_saveexec_b64 s[8:9], vcc
	s_xor_b64 s[8:9], exec, s[8:9]
	s_cbranch_execz .LBB4_10
; %bb.7:                                ;   in Loop: Header=BB4_5 Depth=1
	v_cmp_eq_u16_e32 vcc, 3, v16
	s_and_saveexec_b64 s[10:11], vcc
; %bb.8:                                ;   in Loop: Header=BB4_5 Depth=1
	v_add_u32_e32 v3, 1, v3
; %bb.9:                                ;   in Loop: Header=BB4_5 Depth=1
	s_or_b64 exec, exec, s[10:11]
.LBB4_10:                               ;   in Loop: Header=BB4_5 Depth=1
	s_andn2_saveexec_b64 s[8:9], s[8:9]
; %bb.11:                               ;   in Loop: Header=BB4_5 Depth=1
	v_add_u32_e32 v2, 1, v2
; %bb.12:                               ;   in Loop: Header=BB4_5 Depth=1
	s_or_b64 exec, exec, s[8:9]
.LBB4_13:                               ;   in Loop: Header=BB4_5 Depth=1
	s_andn2_saveexec_b64 s[6:7], s[6:7]
	s_cbranch_execz .LBB4_4
; %bb.14:                               ;   in Loop: Header=BB4_5 Depth=1
	v_cmp_lt_i16_e32 vcc, 0, v16
	s_and_saveexec_b64 s[8:9], vcc
	s_xor_b64 s[8:9], exec, s[8:9]
; %bb.15:                               ;   in Loop: Header=BB4_5 Depth=1
	v_add_u32_e32 v1, 1, v1
; %bb.16:                               ;   in Loop: Header=BB4_5 Depth=1
	s_andn2_saveexec_b64 s[8:9], s[8:9]
	s_cbranch_execz .LBB4_3
; %bb.17:                               ;   in Loop: Header=BB4_5 Depth=1
	v_add_u32_e32 v0, 1, v0
	s_branch .LBB4_3
.LBB4_18:
	s_or_b64 exec, exec, s[2:3]
	v_mov_b32_e32 v9, 0
.LBB4_19:
	s_or_b64 exec, exec, s[0:1]
	s_load_dwordx4 s[0:3], s[4:5], 0x28
	v_lshlrev_b32_e32 v4, 2, v4
	s_waitcnt lgkmcnt(0)
	v_mov_b32_e32 v5, s1
	v_add_co_u32_e32 v6, vcc, s0, v6
	v_addc_co_u32_e32 v7, vcc, v5, v7, vcc
	v_ashrrev_i32_e32 v5, 31, v4
	v_lshlrev_b64 v[4:5], 2, v[4:5]
	global_store_dwordx2 v[6:7], v[8:9], off
	v_mov_b32_e32 v6, s3
	v_add_co_u32_e32 v4, vcc, s2, v4
	v_addc_co_u32_e32 v5, vcc, v6, v5, vcc
	global_store_dwordx4 v[4:5], v[0:3], off
.LBB4_20:
	s_endpgm
	.section	.rodata,"a",@progbits
	.p2align	6, 0x0
	.amdhsa_kernel _Z19kernel_createIndex6PKcPKiPKlPtS5_PlPii
		.amdhsa_group_segment_fixed_size 0
		.amdhsa_private_segment_fixed_size 0
		.amdhsa_kernarg_size 320
		.amdhsa_user_sgpr_count 6
		.amdhsa_user_sgpr_private_segment_buffer 1
		.amdhsa_user_sgpr_dispatch_ptr 0
		.amdhsa_user_sgpr_queue_ptr 0
		.amdhsa_user_sgpr_kernarg_segment_ptr 1
		.amdhsa_user_sgpr_dispatch_id 0
		.amdhsa_user_sgpr_flat_scratch_init 0
		.amdhsa_user_sgpr_kernarg_preload_length 0
		.amdhsa_user_sgpr_kernarg_preload_offset 0
		.amdhsa_user_sgpr_private_segment_size 0
		.amdhsa_uses_dynamic_stack 0
		.amdhsa_system_sgpr_private_segment_wavefront_offset 0
		.amdhsa_system_sgpr_workgroup_id_x 1
		.amdhsa_system_sgpr_workgroup_id_y 0
		.amdhsa_system_sgpr_workgroup_id_z 0
		.amdhsa_system_sgpr_workgroup_info 0
		.amdhsa_system_vgpr_workitem_id 0
		.amdhsa_next_free_vgpr 28
		.amdhsa_next_free_sgpr 16
		.amdhsa_accum_offset 28
		.amdhsa_reserve_vcc 1
		.amdhsa_reserve_flat_scratch 0
		.amdhsa_float_round_mode_32 0
		.amdhsa_float_round_mode_16_64 0
		.amdhsa_float_denorm_mode_32 3
		.amdhsa_float_denorm_mode_16_64 3
		.amdhsa_dx10_clamp 1
		.amdhsa_ieee_mode 1
		.amdhsa_fp16_overflow 0
		.amdhsa_tg_split 0
		.amdhsa_exception_fp_ieee_invalid_op 0
		.amdhsa_exception_fp_denorm_src 0
		.amdhsa_exception_fp_ieee_div_zero 0
		.amdhsa_exception_fp_ieee_overflow 0
		.amdhsa_exception_fp_ieee_underflow 0
		.amdhsa_exception_fp_ieee_inexact 0
		.amdhsa_exception_int_div_zero 0
	.end_amdhsa_kernel
	.text
.Lfunc_end4:
	.size	_Z19kernel_createIndex6PKcPKiPKlPtS5_PlPii, .Lfunc_end4-_Z19kernel_createIndex6PKcPKiPKlPtS5_PlPii
                                        ; -- End function
	.section	.AMDGPU.csdata,"",@progbits
; Kernel info:
; codeLenInByte = 756
; NumSgprs: 20
; NumVgprs: 28
; NumAgprs: 0
; TotalNumVgprs: 28
; ScratchSize: 0
; MemoryBound: 0
; FloatMode: 240
; IeeeMode: 1
; LDSByteSize: 0 bytes/workgroup (compile time only)
; SGPRBlocks: 2
; VGPRBlocks: 3
; NumSGPRsForWavesPerEU: 20
; NumVGPRsForWavesPerEU: 28
; AccumOffset: 28
; Occupancy: 8
; WaveLimiterHint : 0
; COMPUTE_PGM_RSRC2:SCRATCH_EN: 0
; COMPUTE_PGM_RSRC2:USER_SGPR: 6
; COMPUTE_PGM_RSRC2:TRAP_HANDLER: 0
; COMPUTE_PGM_RSRC2:TGID_X_EN: 1
; COMPUTE_PGM_RSRC2:TGID_Y_EN: 0
; COMPUTE_PGM_RSRC2:TGID_Z_EN: 0
; COMPUTE_PGM_RSRC2:TIDIG_COMP_CNT: 0
; COMPUTE_PGM_RSRC3_GFX90A:ACCUM_OFFSET: 6
; COMPUTE_PGM_RSRC3_GFX90A:TG_SPLIT: 0
	.text
	.protected	_Z19kernel_createIndex7PKcPKiPKlPtS5_PlPii ; -- Begin function _Z19kernel_createIndex7PKcPKiPKlPtS5_PlPii
	.globl	_Z19kernel_createIndex7PKcPKiPKlPtS5_PlPii
	.p2align	8
	.type	_Z19kernel_createIndex7PKcPKiPKlPtS5_PlPii,@function
_Z19kernel_createIndex7PKcPKiPKlPtS5_PlPii: ; @_Z19kernel_createIndex7PKcPKiPKlPtS5_PlPii
; %bb.0:
	s_load_dword s0, s[4:5], 0x4c
	s_load_dword s1, s[4:5], 0x38
	s_waitcnt lgkmcnt(0)
	s_and_b32 s0, s0, 0xffff
	s_mul_i32 s6, s6, s0
	v_add_u32_e32 v4, s6, v0
	v_cmp_gt_i32_e32 vcc, s1, v4
	s_and_saveexec_b64 s[0:1], vcc
	s_cbranch_execz .LBB5_20
; %bb.1:
	s_load_dwordx8 s[8:15], s[4:5], 0x0
	v_ashrrev_i32_e32 v5, 31, v4
	v_lshlrev_b64 v[0:1], 2, v[4:5]
	v_mov_b32_e32 v3, 0
	v_pk_mov_b32 v[8:9], 0, 0
	s_waitcnt lgkmcnt(0)
	v_mov_b32_e32 v2, s11
	v_add_co_u32_e32 v0, vcc, s10, v0
	v_addc_co_u32_e32 v1, vcc, v2, v1, vcc
	global_load_dword v12, v[0:1], off
	v_mov_b32_e32 v2, 0
	v_mov_b32_e32 v1, 0
	v_lshlrev_b64 v[6:7], 3, v[4:5]
	v_mov_b32_e32 v0, 0
	s_waitcnt vmcnt(0)
	v_cmp_lt_i32_e32 vcc, 0, v12
	s_and_saveexec_b64 s[0:1], vcc
	s_cbranch_execz .LBB5_19
; %bb.2:
	v_mov_b32_e32 v1, s13
	v_add_co_u32_e32 v0, vcc, s12, v6
	v_addc_co_u32_e32 v1, vcc, v1, v7, vcc
	global_load_dword v10, v[0:1], off
	v_mov_b32_e32 v3, s9
	v_mov_b32_e32 v23, s15
	s_mov_b64 s[2:3], 0
	v_mov_b32_e32 v8, 0
	v_mov_b32_e32 v20, 4
	;; [unrolled: 1-line block ×5, first 2 shown]
	s_movk_i32 s12, 0xffeb
	v_mov_b32_e32 v9, 3
	v_mov_b32_e32 v16, 8
	;; [unrolled: 1-line block ×7, first 2 shown]
	s_waitcnt vmcnt(0)
	v_ashrrev_i32_e32 v11, 31, v10
	v_add_u32_e32 v19, v12, v10
	v_add_co_u32_e32 v12, vcc, s8, v10
	v_addc_co_u32_e32 v13, vcc, v3, v11, vcc
	v_lshlrev_b64 v[14:15], 1, v[10:11]
	v_add_co_u32_e32 v14, vcc, s14, v14
	v_addc_co_u32_e32 v15, vcc, v23, v15, vcc
	v_mov_b32_e32 v3, 0
	s_branch .LBB5_5
.LBB5_3:                                ;   in Loop: Header=BB5_5 Depth=1
	s_or_b64 exec, exec, s[8:9]
.LBB5_4:                                ;   in Loop: Header=BB5_5 Depth=1
	s_or_b64 exec, exec, s[6:7]
	v_lshlrev_b16_e32 v23, 8, v18
	v_or_b32_sdwa v23, v21, v23 dst_sel:DWORD dst_unused:UNUSED_PAD src0_sel:BYTE_0 src1_sel:DWORD
	v_lshlrev_b32_e32 v24, 16, v23
	v_lshlrev_b16_e32 v20, 8, v20
	v_or_b32_e32 v20, v20, v24
	v_lshrrev_b32_e32 v20, 8, v20
	v_lshlrev_b16_e32 v26, 8, v21
	v_lshlrev_b16_e32 v27, 12, v20
	;; [unrolled: 1-line block ×3, first 2 shown]
	v_lshrrev_b32_e32 v24, 24, v24
	v_and_b32_e32 v27, 0x3000, v27
	v_and_b32_e32 v21, 0xc00, v21
	v_or_b32_e32 v21, v27, v21
	v_lshlrev_b16_e32 v27, 8, v24
	v_and_b32_e32 v27, 0x300, v27
	v_or_b32_e32 v21, v21, v27
	v_lshlrev_b16_e32 v27, 6, v22
	v_and_b32_e32 v27, 0xc0, v27
	v_or_b32_e32 v21, v21, v27
	v_lshlrev_b16_e32 v27, 4, v5
	v_and_b32_e32 v27, 48, v27
	v_lshlrev_b16_e32 v28, 2, v11
	v_lshlrev_b16_e32 v25, 8, v22
	v_max_i16_sdwa v23, sext(v23), v9 dst_sel:DWORD dst_unused:UNUSED_PAD src0_sel:BYTE_0 src1_sel:DWORD
	v_max_i16_sdwa v24, sext(v24), v9 dst_sel:DWORD dst_unused:UNUSED_PAD src0_sel:BYTE_0 src1_sel:DWORD
	;; [unrolled: 1-line block ×3, first 2 shown]
	v_or_b32_e32 v21, v21, v27
	v_max_i16_sdwa v27, sext(v5), v9 dst_sel:DWORD dst_unused:UNUSED_PAD src0_sel:BYTE_0 src1_sel:DWORD
	v_and_b32_e32 v28, 12, v28
	v_max_i16_sdwa v20, sext(v20), v9 dst_sel:DWORD dst_unused:UNUSED_PAD src0_sel:BYTE_0 src1_sel:DWORD
	v_or_b32_e32 v21, v21, v28
	v_max_i16_sdwa v28, sext(v11), v9 dst_sel:DWORD dst_unused:UNUSED_PAD src0_sel:BYTE_0 src1_sel:DWORD
	v_and_b32_e32 v29, 3, v17
	v_add_u16_e32 v23, v23, v24
	v_add_u16_e32 v22, v22, v27
	v_or_b32_e32 v21, v21, v29
	v_max_i16_sdwa v29, sext(v17), v9 dst_sel:DWORD dst_unused:UNUSED_PAD src0_sel:BYTE_0 src1_sel:DWORD
	v_add_u32_e32 v20, v20, v23
	v_add_u32_e32 v22, v22, v28
	v_add3_u32 v20, v20, v22, s12
	v_sub_u32_e32 v22, 0, v29
	v_cmp_eq_u32_e32 vcc, v20, v22
	v_cndmask_b32_e32 v20, -1, v21, vcc
	v_addc_co_u32_e32 v8, vcc, 0, v8, vcc
	v_add_co_u32_e32 v12, vcc, 1, v12
	v_lshrrev_b32_sdwa v21, v16, v25 dst_sel:BYTE_1 dst_unused:UNUSED_PAD src0_sel:DWORD src1_sel:DWORD
	v_addc_co_u32_e32 v13, vcc, 0, v13, vcc
	global_store_short v[14:15], v20, off
	v_or_b32_sdwa v21, v18, v21 dst_sel:DWORD dst_unused:UNUSED_PAD src0_sel:BYTE_0 src1_sel:DWORD
	v_add_co_u32_e32 v14, vcc, 2, v14
	v_add_u32_e32 v10, 1, v10
	v_lshrrev_b32_sdwa v20, v16, v26 dst_sel:BYTE_1 dst_unused:UNUSED_PAD src0_sel:DWORD src1_sel:DWORD
	v_lshlrev_b32_e32 v22, 16, v21
	v_addc_co_u32_e32 v15, vcc, 0, v15, vcc
	v_or_b32_e32 v20, v20, v22
	v_cmp_ge_i32_e32 vcc, v10, v19
	v_lshrrev_b32_e32 v18, 24, v22
	v_lshrrev_b32_e32 v20, 8, v20
	s_or_b64 s[2:3], vcc, s[2:3]
	v_mov_b32_e32 v22, v5
	v_mov_b32_e32 v5, v11
	s_andn2_b64 exec, exec, s[2:3]
	s_cbranch_execz .LBB5_18
.LBB5_5:                                ; =>This Inner Loop Header: Depth=1
	v_mov_b32_e32 v11, v17
	global_load_ubyte v17, v[12:13], off
	s_waitcnt vmcnt(0)
	v_cmp_lt_i16_e32 vcc, 1, v17
	s_and_saveexec_b64 s[6:7], vcc
	s_xor_b64 s[6:7], exec, s[6:7]
	s_cbranch_execz .LBB5_13
; %bb.6:                                ;   in Loop: Header=BB5_5 Depth=1
	v_cmp_lt_i16_e32 vcc, 2, v17
	s_and_saveexec_b64 s[8:9], vcc
	s_xor_b64 s[8:9], exec, s[8:9]
	s_cbranch_execz .LBB5_10
; %bb.7:                                ;   in Loop: Header=BB5_5 Depth=1
	v_cmp_eq_u16_e32 vcc, 3, v17
	s_and_saveexec_b64 s[10:11], vcc
; %bb.8:                                ;   in Loop: Header=BB5_5 Depth=1
	v_add_u32_e32 v3, 1, v3
; %bb.9:                                ;   in Loop: Header=BB5_5 Depth=1
	s_or_b64 exec, exec, s[10:11]
.LBB5_10:                               ;   in Loop: Header=BB5_5 Depth=1
	s_andn2_saveexec_b64 s[8:9], s[8:9]
; %bb.11:                               ;   in Loop: Header=BB5_5 Depth=1
	v_add_u32_e32 v2, 1, v2
; %bb.12:                               ;   in Loop: Header=BB5_5 Depth=1
	s_or_b64 exec, exec, s[8:9]
.LBB5_13:                               ;   in Loop: Header=BB5_5 Depth=1
	s_andn2_saveexec_b64 s[6:7], s[6:7]
	s_cbranch_execz .LBB5_4
; %bb.14:                               ;   in Loop: Header=BB5_5 Depth=1
	v_cmp_lt_i16_e32 vcc, 0, v17
	s_and_saveexec_b64 s[8:9], vcc
	s_xor_b64 s[8:9], exec, s[8:9]
; %bb.15:                               ;   in Loop: Header=BB5_5 Depth=1
	v_add_u32_e32 v1, 1, v1
; %bb.16:                               ;   in Loop: Header=BB5_5 Depth=1
	s_andn2_saveexec_b64 s[8:9], s[8:9]
	s_cbranch_execz .LBB5_3
; %bb.17:                               ;   in Loop: Header=BB5_5 Depth=1
	v_add_u32_e32 v0, 1, v0
	s_branch .LBB5_3
.LBB5_18:
	s_or_b64 exec, exec, s[2:3]
	v_mov_b32_e32 v9, 0
.LBB5_19:
	s_or_b64 exec, exec, s[0:1]
	s_load_dwordx4 s[0:3], s[4:5], 0x28
	v_lshlrev_b32_e32 v4, 2, v4
	s_waitcnt lgkmcnt(0)
	v_mov_b32_e32 v5, s1
	v_add_co_u32_e32 v6, vcc, s0, v6
	v_addc_co_u32_e32 v7, vcc, v5, v7, vcc
	v_ashrrev_i32_e32 v5, 31, v4
	v_lshlrev_b64 v[4:5], 2, v[4:5]
	global_store_dwordx2 v[6:7], v[8:9], off
	v_mov_b32_e32 v6, s3
	v_add_co_u32_e32 v4, vcc, s2, v4
	v_addc_co_u32_e32 v5, vcc, v6, v5, vcc
	global_store_dwordx4 v[4:5], v[0:3], off
.LBB5_20:
	s_endpgm
	.section	.rodata,"a",@progbits
	.p2align	6, 0x0
	.amdhsa_kernel _Z19kernel_createIndex7PKcPKiPKlPtS5_PlPii
		.amdhsa_group_segment_fixed_size 0
		.amdhsa_private_segment_fixed_size 0
		.amdhsa_kernarg_size 320
		.amdhsa_user_sgpr_count 6
		.amdhsa_user_sgpr_private_segment_buffer 1
		.amdhsa_user_sgpr_dispatch_ptr 0
		.amdhsa_user_sgpr_queue_ptr 0
		.amdhsa_user_sgpr_kernarg_segment_ptr 1
		.amdhsa_user_sgpr_dispatch_id 0
		.amdhsa_user_sgpr_flat_scratch_init 0
		.amdhsa_user_sgpr_kernarg_preload_length 0
		.amdhsa_user_sgpr_kernarg_preload_offset 0
		.amdhsa_user_sgpr_private_segment_size 0
		.amdhsa_uses_dynamic_stack 0
		.amdhsa_system_sgpr_private_segment_wavefront_offset 0
		.amdhsa_system_sgpr_workgroup_id_x 1
		.amdhsa_system_sgpr_workgroup_id_y 0
		.amdhsa_system_sgpr_workgroup_id_z 0
		.amdhsa_system_sgpr_workgroup_info 0
		.amdhsa_system_vgpr_workitem_id 0
		.amdhsa_next_free_vgpr 30
		.amdhsa_next_free_sgpr 16
		.amdhsa_accum_offset 32
		.amdhsa_reserve_vcc 1
		.amdhsa_reserve_flat_scratch 0
		.amdhsa_float_round_mode_32 0
		.amdhsa_float_round_mode_16_64 0
		.amdhsa_float_denorm_mode_32 3
		.amdhsa_float_denorm_mode_16_64 3
		.amdhsa_dx10_clamp 1
		.amdhsa_ieee_mode 1
		.amdhsa_fp16_overflow 0
		.amdhsa_tg_split 0
		.amdhsa_exception_fp_ieee_invalid_op 0
		.amdhsa_exception_fp_denorm_src 0
		.amdhsa_exception_fp_ieee_div_zero 0
		.amdhsa_exception_fp_ieee_overflow 0
		.amdhsa_exception_fp_ieee_underflow 0
		.amdhsa_exception_fp_ieee_inexact 0
		.amdhsa_exception_int_div_zero 0
	.end_amdhsa_kernel
	.text
.Lfunc_end5:
	.size	_Z19kernel_createIndex7PKcPKiPKlPtS5_PlPii, .Lfunc_end5-_Z19kernel_createIndex7PKcPKiPKlPtS5_PlPii
                                        ; -- End function
	.section	.AMDGPU.csdata,"",@progbits
; Kernel info:
; codeLenInByte = 796
; NumSgprs: 20
; NumVgprs: 30
; NumAgprs: 0
; TotalNumVgprs: 30
; ScratchSize: 0
; MemoryBound: 0
; FloatMode: 240
; IeeeMode: 1
; LDSByteSize: 0 bytes/workgroup (compile time only)
; SGPRBlocks: 2
; VGPRBlocks: 3
; NumSGPRsForWavesPerEU: 20
; NumVGPRsForWavesPerEU: 30
; AccumOffset: 32
; Occupancy: 8
; WaveLimiterHint : 0
; COMPUTE_PGM_RSRC2:SCRATCH_EN: 0
; COMPUTE_PGM_RSRC2:USER_SGPR: 6
; COMPUTE_PGM_RSRC2:TRAP_HANDLER: 0
; COMPUTE_PGM_RSRC2:TGID_X_EN: 1
; COMPUTE_PGM_RSRC2:TGID_Y_EN: 0
; COMPUTE_PGM_RSRC2:TGID_Z_EN: 0
; COMPUTE_PGM_RSRC2:TIDIG_COMP_CNT: 0
; COMPUTE_PGM_RSRC3_GFX90A:ACCUM_OFFSET: 7
; COMPUTE_PGM_RSRC3_GFX90A:TG_SPLIT: 0
	.text
	.protected	_Z19kernel_createCutofffiPKiPlPii ; -- Begin function _Z19kernel_createCutofffiPKiPlPii
	.globl	_Z19kernel_createCutofffiPKiPlPii
	.p2align	8
	.type	_Z19kernel_createCutofffiPKiPlPii,@function
_Z19kernel_createCutofffiPKiPlPii:      ; @_Z19kernel_createCutofffiPKiPlPii
; %bb.0:
	s_load_dword s0, s[4:5], 0x34
	s_load_dword s1, s[4:5], 0x20
	s_waitcnt lgkmcnt(0)
	s_and_b32 s0, s0, 0xffff
	s_mul_i32 s6, s6, s0
	v_add_u32_e32 v0, s6, v0
	v_cmp_gt_i32_e32 vcc, s1, v0
	s_and_saveexec_b64 s[0:1], vcc
	s_cbranch_execz .LBB6_2
; %bb.1:
	s_load_dwordx4 s[0:3], s[4:5], 0x0
	s_load_dwordx2 s[6:7], s[4:5], 0x18
	v_ashrrev_i32_e32 v1, 31, v0
	v_lshlrev_b64 v[0:1], 2, v[0:1]
	s_waitcnt lgkmcnt(0)
	v_mov_b32_e32 v3, s3
	v_add_co_u32_e32 v2, vcc, s2, v0
	v_addc_co_u32_e32 v3, vcc, v3, v1, vcc
	global_load_dword v2, v[2:3], off
	v_cvt_f32_i32_e32 v4, s1
	v_sub_f32_e64 v5, 1.0, s0
	v_add_co_u32_e32 v0, vcc, s6, v0
	s_waitcnt vmcnt(0)
	v_cvt_f32_i32_e32 v3, v2
	v_mul_f32_e32 v3, v5, v3
	v_mul_f32_e32 v3, v3, v4
	v_ceil_f32_e32 v3, v3
	v_cvt_i32_f32_e32 v3, v3
	v_mov_b32_e32 v4, s7
	v_addc_co_u32_e32 v1, vcc, v4, v1, vcc
	v_add_u32_e32 v3, s1, v3
	v_sub_u32_e32 v2, v2, v3
	v_add_u32_e32 v2, 1, v2
	global_store_dword v[0:1], v2, off
.LBB6_2:
	s_endpgm
	.section	.rodata,"a",@progbits
	.p2align	6, 0x0
	.amdhsa_kernel _Z19kernel_createCutofffiPKiPlPii
		.amdhsa_group_segment_fixed_size 0
		.amdhsa_private_segment_fixed_size 0
		.amdhsa_kernarg_size 296
		.amdhsa_user_sgpr_count 6
		.amdhsa_user_sgpr_private_segment_buffer 1
		.amdhsa_user_sgpr_dispatch_ptr 0
		.amdhsa_user_sgpr_queue_ptr 0
		.amdhsa_user_sgpr_kernarg_segment_ptr 1
		.amdhsa_user_sgpr_dispatch_id 0
		.amdhsa_user_sgpr_flat_scratch_init 0
		.amdhsa_user_sgpr_kernarg_preload_length 0
		.amdhsa_user_sgpr_kernarg_preload_offset 0
		.amdhsa_user_sgpr_private_segment_size 0
		.amdhsa_uses_dynamic_stack 0
		.amdhsa_system_sgpr_private_segment_wavefront_offset 0
		.amdhsa_system_sgpr_workgroup_id_x 1
		.amdhsa_system_sgpr_workgroup_id_y 0
		.amdhsa_system_sgpr_workgroup_id_z 0
		.amdhsa_system_sgpr_workgroup_info 0
		.amdhsa_system_vgpr_workitem_id 0
		.amdhsa_next_free_vgpr 6
		.amdhsa_next_free_sgpr 8
		.amdhsa_accum_offset 8
		.amdhsa_reserve_vcc 1
		.amdhsa_reserve_flat_scratch 0
		.amdhsa_float_round_mode_32 0
		.amdhsa_float_round_mode_16_64 0
		.amdhsa_float_denorm_mode_32 3
		.amdhsa_float_denorm_mode_16_64 3
		.amdhsa_dx10_clamp 1
		.amdhsa_ieee_mode 1
		.amdhsa_fp16_overflow 0
		.amdhsa_tg_split 0
		.amdhsa_exception_fp_ieee_invalid_op 0
		.amdhsa_exception_fp_denorm_src 0
		.amdhsa_exception_fp_ieee_div_zero 0
		.amdhsa_exception_fp_ieee_overflow 0
		.amdhsa_exception_fp_ieee_underflow 0
		.amdhsa_exception_fp_ieee_inexact 0
		.amdhsa_exception_int_div_zero 0
	.end_amdhsa_kernel
	.text
.Lfunc_end6:
	.size	_Z19kernel_createCutofffiPKiPlPii, .Lfunc_end6-_Z19kernel_createCutofffiPKiPlPii
                                        ; -- End function
	.section	.AMDGPU.csdata,"",@progbits
; Kernel info:
; codeLenInByte = 172
; NumSgprs: 12
; NumVgprs: 6
; NumAgprs: 0
; TotalNumVgprs: 6
; ScratchSize: 0
; MemoryBound: 0
; FloatMode: 240
; IeeeMode: 1
; LDSByteSize: 0 bytes/workgroup (compile time only)
; SGPRBlocks: 1
; VGPRBlocks: 0
; NumSGPRsForWavesPerEU: 12
; NumVGPRsForWavesPerEU: 6
; AccumOffset: 8
; Occupancy: 8
; WaveLimiterHint : 0
; COMPUTE_PGM_RSRC2:SCRATCH_EN: 0
; COMPUTE_PGM_RSRC2:USER_SGPR: 6
; COMPUTE_PGM_RSRC2:TRAP_HANDLER: 0
; COMPUTE_PGM_RSRC2:TGID_X_EN: 1
; COMPUTE_PGM_RSRC2:TGID_Y_EN: 0
; COMPUTE_PGM_RSRC2:TGID_Z_EN: 0
; COMPUTE_PGM_RSRC2:TIDIG_COMP_CNT: 0
; COMPUTE_PGM_RSRC3_GFX90A:ACCUM_OFFSET: 1
; COMPUTE_PGM_RSRC3_GFX90A:TG_SPLIT: 0
	.text
	.protected	_Z17kernel_mergeIndexPKlPKtPtS0_i ; -- Begin function _Z17kernel_mergeIndexPKlPKtPtS0_i
	.globl	_Z17kernel_mergeIndexPKlPKtPtS0_i
	.p2align	8
	.type	_Z17kernel_mergeIndexPKlPKtPtS0_i,@function
_Z17kernel_mergeIndexPKlPKtPtS0_i:      ; @_Z17kernel_mergeIndexPKlPKtPtS0_i
; %bb.0:
	s_load_dword s0, s[4:5], 0x34
	s_load_dword s1, s[4:5], 0x20
	s_waitcnt lgkmcnt(0)
	s_and_b32 s0, s0, 0xffff
	s_mul_i32 s6, s6, s0
	v_add_u32_e32 v0, s6, v0
	v_cmp_gt_i32_e32 vcc, s1, v0
	s_and_saveexec_b64 s[0:1], vcc
	s_cbranch_execz .LBB7_6
; %bb.1:
	s_load_dwordx8 s[0:7], s[4:5], 0x0
	v_ashrrev_i32_e32 v1, 31, v0
	v_lshlrev_b64 v[2:3], 3, v[0:1]
	v_mov_b32_e32 v6, 1
	s_waitcnt lgkmcnt(0)
	v_mov_b32_e32 v1, s1
	v_add_co_u32_e32 v0, vcc, s0, v2
	v_addc_co_u32_e32 v1, vcc, v1, v3, vcc
	global_load_dwordx2 v[0:1], v[0:1], off
	s_waitcnt vmcnt(0)
	v_mov_b32_e32 v1, s7
	v_add_co_u32_e32 v2, vcc, s6, v2
	v_addc_co_u32_e32 v3, vcc, v1, v3, vcc
	global_load_dwordx2 v[2:3], v[2:3], off
	v_add_u32_e32 v5, 1, v0
	s_waitcnt vmcnt(0)
	v_add_co_u32_e32 v4, vcc, v2, v0
	v_cmp_lt_i32_e32 vcc, v5, v4
	s_and_saveexec_b64 s[0:1], vcc
	s_cbranch_execz .LBB7_5
; %bb.2:
	v_mov_b32_e32 v2, 0
	v_mov_b32_e32 v3, v0
	v_ashrrev_i64 v[2:3], 31, v[2:3]
	v_mov_b32_e32 v1, s3
	v_add_co_u32_e32 v2, vcc, s2, v2
	v_addc_co_u32_e32 v3, vcc, v1, v3, vcc
	global_load_ushort v7, v[2:3], off
	v_ashrrev_i32_e32 v1, 31, v0
	v_lshlrev_b64 v[2:3], 1, v[0:1]
	v_mov_b32_e32 v1, s5
	v_add_co_u32_e32 v0, vcc, s4, v2
	v_addc_co_u32_e32 v1, vcc, v1, v3, vcc
	v_mov_b32_e32 v6, s3
	v_add_co_u32_e32 v2, vcc, s2, v2
	v_addc_co_u32_e32 v3, vcc, v3, v6, vcc
	v_add_co_u32_e32 v2, vcc, 2, v2
	v_addc_co_u32_e32 v3, vcc, 0, v3, vcc
	s_mov_b64 s[2:3], 0
	v_mov_b32_e32 v6, 1
.LBB7_3:                                ; =>This Inner Loop Header: Depth=1
	global_load_ushort v8, v[2:3], off
	v_add_co_u32_e32 v2, vcc, 2, v2
	v_add_u32_e32 v5, 1, v5
	v_addc_co_u32_e32 v3, vcc, 0, v3, vcc
	v_cmp_ge_i32_e32 vcc, v5, v4
	s_or_b64 s[2:3], vcc, s[2:3]
	v_add_u32_e32 v9, 1, v6
	s_waitcnt vmcnt(0)
	v_cmp_eq_u16_e32 vcc, v8, v7
	v_cndmask_b32_e64 v10, v6, 0, vcc
	v_cndmask_b32_e32 v6, 1, v9, vcc
	global_store_short v[0:1], v10, off
	v_add_co_u32_e32 v0, vcc, 2, v0
	v_mov_b32_e32 v7, v8
	v_addc_co_u32_e32 v1, vcc, 0, v1, vcc
	s_andn2_b64 exec, exec, s[2:3]
	s_cbranch_execnz .LBB7_3
; %bb.4:
	s_or_b64 exec, exec, s[2:3]
.LBB7_5:
	s_or_b64 exec, exec, s[0:1]
	v_add_co_u32_e64 v0, vcc, 0, 0
	v_addc_co_u32_e32 v1, vcc, -1, v4, vcc
	v_ashrrev_i64 v[0:1], 31, v[0:1]
	v_mov_b32_e32 v2, s5
	v_add_co_u32_e32 v0, vcc, s4, v0
	v_addc_co_u32_e32 v1, vcc, v2, v1, vcc
	global_store_short v[0:1], v6, off
.LBB7_6:
	s_endpgm
	.section	.rodata,"a",@progbits
	.p2align	6, 0x0
	.amdhsa_kernel _Z17kernel_mergeIndexPKlPKtPtS0_i
		.amdhsa_group_segment_fixed_size 0
		.amdhsa_private_segment_fixed_size 0
		.amdhsa_kernarg_size 296
		.amdhsa_user_sgpr_count 6
		.amdhsa_user_sgpr_private_segment_buffer 1
		.amdhsa_user_sgpr_dispatch_ptr 0
		.amdhsa_user_sgpr_queue_ptr 0
		.amdhsa_user_sgpr_kernarg_segment_ptr 1
		.amdhsa_user_sgpr_dispatch_id 0
		.amdhsa_user_sgpr_flat_scratch_init 0
		.amdhsa_user_sgpr_kernarg_preload_length 0
		.amdhsa_user_sgpr_kernarg_preload_offset 0
		.amdhsa_user_sgpr_private_segment_size 0
		.amdhsa_uses_dynamic_stack 0
		.amdhsa_system_sgpr_private_segment_wavefront_offset 0
		.amdhsa_system_sgpr_workgroup_id_x 1
		.amdhsa_system_sgpr_workgroup_id_y 0
		.amdhsa_system_sgpr_workgroup_id_z 0
		.amdhsa_system_sgpr_workgroup_info 0
		.amdhsa_system_vgpr_workitem_id 0
		.amdhsa_next_free_vgpr 11
		.amdhsa_next_free_sgpr 8
		.amdhsa_accum_offset 12
		.amdhsa_reserve_vcc 1
		.amdhsa_reserve_flat_scratch 0
		.amdhsa_float_round_mode_32 0
		.amdhsa_float_round_mode_16_64 0
		.amdhsa_float_denorm_mode_32 3
		.amdhsa_float_denorm_mode_16_64 3
		.amdhsa_dx10_clamp 1
		.amdhsa_ieee_mode 1
		.amdhsa_fp16_overflow 0
		.amdhsa_tg_split 0
		.amdhsa_exception_fp_ieee_invalid_op 0
		.amdhsa_exception_fp_denorm_src 0
		.amdhsa_exception_fp_ieee_div_zero 0
		.amdhsa_exception_fp_ieee_overflow 0
		.amdhsa_exception_fp_ieee_underflow 0
		.amdhsa_exception_fp_ieee_inexact 0
		.amdhsa_exception_int_div_zero 0
	.end_amdhsa_kernel
	.text
.Lfunc_end7:
	.size	_Z17kernel_mergeIndexPKlPKtPtS0_i, .Lfunc_end7-_Z17kernel_mergeIndexPKlPKtPtS0_i
                                        ; -- End function
	.section	.AMDGPU.csdata,"",@progbits
; Kernel info:
; codeLenInByte = 364
; NumSgprs: 12
; NumVgprs: 11
; NumAgprs: 0
; TotalNumVgprs: 11
; ScratchSize: 0
; MemoryBound: 0
; FloatMode: 240
; IeeeMode: 1
; LDSByteSize: 0 bytes/workgroup (compile time only)
; SGPRBlocks: 1
; VGPRBlocks: 1
; NumSGPRsForWavesPerEU: 12
; NumVGPRsForWavesPerEU: 11
; AccumOffset: 12
; Occupancy: 8
; WaveLimiterHint : 1
; COMPUTE_PGM_RSRC2:SCRATCH_EN: 0
; COMPUTE_PGM_RSRC2:USER_SGPR: 6
; COMPUTE_PGM_RSRC2:TRAP_HANDLER: 0
; COMPUTE_PGM_RSRC2:TGID_X_EN: 1
; COMPUTE_PGM_RSRC2:TGID_Y_EN: 0
; COMPUTE_PGM_RSRC2:TGID_Z_EN: 0
; COMPUTE_PGM_RSRC2:TIDIG_COMP_CNT: 0
; COMPUTE_PGM_RSRC3_GFX90A:ACCUM_OFFSET: 2
; COMPUTE_PGM_RSRC3_GFX90A:TG_SPLIT: 0
	.text
	.protected	_Z27kernel_updateRepresentativePiS_i ; -- Begin function _Z27kernel_updateRepresentativePiS_i
	.globl	_Z27kernel_updateRepresentativePiS_i
	.p2align	8
	.type	_Z27kernel_updateRepresentativePiS_i,@function
_Z27kernel_updateRepresentativePiS_i:   ; @_Z27kernel_updateRepresentativePiS_i
; %bb.0:
	s_load_dwordx4 s[0:3], s[4:5], 0x0
	s_load_dword s10, s[4:5], 0x10
	s_waitcnt lgkmcnt(0)
	s_load_dword s4, s[2:3], 0x0
	s_waitcnt lgkmcnt(0)
	s_ashr_i32 s5, s4, 31
	s_add_i32 s6, s4, 1
	s_max_i32 s11, s10, s6
	s_lshl_b64 s[6:7], s[4:5], 2
	s_add_u32 s0, s6, s0
	s_addc_u32 s1, s7, s1
	s_add_u32 s0, s0, 4
	s_addc_u32 s1, s1, 0
	s_branch .LBB8_2
.LBB8_1:                                ;   in Loop: Header=BB8_2 Depth=1
	s_andn2_b64 vcc, exec, s[8:9]
	s_cbranch_vccz .LBB8_4
.LBB8_2:                                ; =>This Inner Loop Header: Depth=1
	s_add_i32 s4, s4, 1
	s_mov_b64 s[6:7], -1
	s_cmp_ge_i32 s4, s10
	s_mov_b64 s[8:9], -1
	s_cbranch_scc1 .LBB8_1
; %bb.3:                                ;   in Loop: Header=BB8_2 Depth=1
	s_load_dword s5, s[0:1], 0x0
	s_mov_b64 s[6:7], 0
	s_waitcnt lgkmcnt(0)
	s_cmp_lt_i32 s5, 0
	s_cselect_b64 s[8:9], -1, 0
	s_add_u32 s0, s0, 4
	s_addc_u32 s1, s1, 0
	s_branch .LBB8_1
.LBB8_4:
	s_andn2_b64 vcc, exec, s[6:7]
	s_cbranch_vccz .LBB8_6
; %bb.5:
	v_mov_b32_e32 v0, 0
	v_mov_b32_e32 v1, s4
	s_mov_b32 s11, s4
	global_store_dword v0, v1, s[0:1] offset:-4
.LBB8_6:
	v_mov_b32_e32 v0, 0
	v_mov_b32_e32 v1, s11
	global_store_dword v0, v1, s[2:3]
	s_endpgm
	.section	.rodata,"a",@progbits
	.p2align	6, 0x0
	.amdhsa_kernel _Z27kernel_updateRepresentativePiS_i
		.amdhsa_group_segment_fixed_size 0
		.amdhsa_private_segment_fixed_size 0
		.amdhsa_kernarg_size 20
		.amdhsa_user_sgpr_count 6
		.amdhsa_user_sgpr_private_segment_buffer 1
		.amdhsa_user_sgpr_dispatch_ptr 0
		.amdhsa_user_sgpr_queue_ptr 0
		.amdhsa_user_sgpr_kernarg_segment_ptr 1
		.amdhsa_user_sgpr_dispatch_id 0
		.amdhsa_user_sgpr_flat_scratch_init 0
		.amdhsa_user_sgpr_kernarg_preload_length 0
		.amdhsa_user_sgpr_kernarg_preload_offset 0
		.amdhsa_user_sgpr_private_segment_size 0
		.amdhsa_uses_dynamic_stack 0
		.amdhsa_system_sgpr_private_segment_wavefront_offset 0
		.amdhsa_system_sgpr_workgroup_id_x 1
		.amdhsa_system_sgpr_workgroup_id_y 0
		.amdhsa_system_sgpr_workgroup_id_z 0
		.amdhsa_system_sgpr_workgroup_info 0
		.amdhsa_system_vgpr_workitem_id 0
		.amdhsa_next_free_vgpr 2
		.amdhsa_next_free_sgpr 12
		.amdhsa_accum_offset 4
		.amdhsa_reserve_vcc 1
		.amdhsa_reserve_flat_scratch 0
		.amdhsa_float_round_mode_32 0
		.amdhsa_float_round_mode_16_64 0
		.amdhsa_float_denorm_mode_32 3
		.amdhsa_float_denorm_mode_16_64 3
		.amdhsa_dx10_clamp 1
		.amdhsa_ieee_mode 1
		.amdhsa_fp16_overflow 0
		.amdhsa_tg_split 0
		.amdhsa_exception_fp_ieee_invalid_op 0
		.amdhsa_exception_fp_denorm_src 0
		.amdhsa_exception_fp_ieee_div_zero 0
		.amdhsa_exception_fp_ieee_overflow 0
		.amdhsa_exception_fp_ieee_underflow 0
		.amdhsa_exception_fp_ieee_inexact 0
		.amdhsa_exception_int_div_zero 0
	.end_amdhsa_kernel
	.text
.Lfunc_end8:
	.size	_Z27kernel_updateRepresentativePiS_i, .Lfunc_end8-_Z27kernel_updateRepresentativePiS_i
                                        ; -- End function
	.section	.AMDGPU.csdata,"",@progbits
; Kernel info:
; codeLenInByte = 180
; NumSgprs: 16
; NumVgprs: 2
; NumAgprs: 0
; TotalNumVgprs: 2
; ScratchSize: 0
; MemoryBound: 0
; FloatMode: 240
; IeeeMode: 1
; LDSByteSize: 0 bytes/workgroup (compile time only)
; SGPRBlocks: 1
; VGPRBlocks: 0
; NumSGPRsForWavesPerEU: 16
; NumVGPRsForWavesPerEU: 2
; AccumOffset: 4
; Occupancy: 8
; WaveLimiterHint : 0
; COMPUTE_PGM_RSRC2:SCRATCH_EN: 0
; COMPUTE_PGM_RSRC2:USER_SGPR: 6
; COMPUTE_PGM_RSRC2:TRAP_HANDLER: 0
; COMPUTE_PGM_RSRC2:TGID_X_EN: 1
; COMPUTE_PGM_RSRC2:TGID_Y_EN: 0
; COMPUTE_PGM_RSRC2:TGID_Z_EN: 0
; COMPUTE_PGM_RSRC2:TIDIG_COMP_CNT: 0
; COMPUTE_PGM_RSRC3_GFX90A:ACCUM_OFFSET: 0
; COMPUTE_PGM_RSRC3_GFX90A:TG_SPLIT: 0
	.text
	.protected	_Z16kernel_makeTablePKlPKtS2_S0_Pti ; -- Begin function _Z16kernel_makeTablePKlPKtS2_S0_Pti
	.globl	_Z16kernel_makeTablePKlPKtS2_S0_Pti
	.p2align	8
	.type	_Z16kernel_makeTablePKlPKtS2_S0_Pti,@function
_Z16kernel_makeTablePKlPKtS2_S0_Pti:    ; @_Z16kernel_makeTablePKlPKtS2_S0_Pti
; %bb.0:
	s_load_dword s0, s[4:5], 0x28
	s_load_dword s2, s[4:5], 0x3c
	s_load_dwordx8 s[8:15], s[4:5], 0x0
	s_waitcnt lgkmcnt(0)
	s_ashr_i32 s1, s0, 31
	s_and_b32 s7, s2, 0xffff
	s_lshl_b64 s[0:1], s[0:1], 3
	s_add_u32 s2, s8, s0
	s_addc_u32 s3, s9, s1
	s_add_u32 s0, s14, s0
	s_load_dword s2, s[2:3], 0x0
	s_addc_u32 s1, s15, s1
	s_load_dword s0, s[0:1], 0x0
	s_mul_i32 s6, s6, s7
	s_waitcnt lgkmcnt(0)
	s_add_i32 s1, s2, s6
	v_add_u32_e32 v0, s1, v0
	s_add_i32 s6, s0, s2
	v_cmp_gt_i32_e32 vcc, s6, v0
	s_and_saveexec_b64 s[0:1], vcc
	s_cbranch_execz .LBB9_5
; %bb.1:
	v_ashrrev_i32_e32 v1, 31, v0
	s_load_dwordx2 s[2:3], s[4:5], 0x20
	v_lshlrev_b64 v[4:5], 1, v[0:1]
	v_mov_b32_e32 v1, s13
	v_add_co_u32_e32 v2, vcc, s12, v4
	v_addc_co_u32_e32 v3, vcc, v1, v5, vcc
	v_mov_b32_e32 v1, s11
	v_add_co_u32_e32 v4, vcc, s10, v4
	v_addc_co_u32_e32 v5, vcc, v1, v5, vcc
	s_mov_b64 s[4:5], 0
	s_branch .LBB9_3
.LBB9_2:                                ;   in Loop: Header=BB9_3 Depth=1
	s_or_b64 exec, exec, s[0:1]
	v_add_co_u32_e32 v2, vcc, 0x8000, v2
	v_add_u32_e32 v0, 0x4000, v0
	v_addc_co_u32_e32 v3, vcc, 0, v3, vcc
	v_add_co_u32_e32 v4, vcc, 0x8000, v4
	v_cmp_le_i32_e64 s[0:1], s6, v0
	s_or_b64 s[4:5], s[0:1], s[4:5]
	v_addc_co_u32_e32 v5, vcc, 0, v5, vcc
	s_andn2_b64 exec, exec, s[4:5]
	s_cbranch_execz .LBB9_5
.LBB9_3:                                ; =>This Inner Loop Header: Depth=1
	global_load_ushort v1, v[2:3], off
	s_waitcnt vmcnt(0)
	v_cmp_ne_u16_e32 vcc, 0, v1
	s_and_saveexec_b64 s[0:1], vcc
	s_cbranch_execz .LBB9_2
; %bb.4:                                ;   in Loop: Header=BB9_3 Depth=1
	global_load_ushort v6, v[4:5], off
	s_waitcnt vmcnt(0)
	v_lshlrev_b32_e32 v6, 1, v6
	s_waitcnt lgkmcnt(0)
	global_store_short v6, v1, s[2:3]
	s_branch .LBB9_2
.LBB9_5:
	s_endpgm
	.section	.rodata,"a",@progbits
	.p2align	6, 0x0
	.amdhsa_kernel _Z16kernel_makeTablePKlPKtS2_S0_Pti
		.amdhsa_group_segment_fixed_size 0
		.amdhsa_private_segment_fixed_size 0
		.amdhsa_kernarg_size 304
		.amdhsa_user_sgpr_count 6
		.amdhsa_user_sgpr_private_segment_buffer 1
		.amdhsa_user_sgpr_dispatch_ptr 0
		.amdhsa_user_sgpr_queue_ptr 0
		.amdhsa_user_sgpr_kernarg_segment_ptr 1
		.amdhsa_user_sgpr_dispatch_id 0
		.amdhsa_user_sgpr_flat_scratch_init 0
		.amdhsa_user_sgpr_kernarg_preload_length 0
		.amdhsa_user_sgpr_kernarg_preload_offset 0
		.amdhsa_user_sgpr_private_segment_size 0
		.amdhsa_uses_dynamic_stack 0
		.amdhsa_system_sgpr_private_segment_wavefront_offset 0
		.amdhsa_system_sgpr_workgroup_id_x 1
		.amdhsa_system_sgpr_workgroup_id_y 0
		.amdhsa_system_sgpr_workgroup_id_z 0
		.amdhsa_system_sgpr_workgroup_info 0
		.amdhsa_system_vgpr_workitem_id 0
		.amdhsa_next_free_vgpr 7
		.amdhsa_next_free_sgpr 16
		.amdhsa_accum_offset 8
		.amdhsa_reserve_vcc 1
		.amdhsa_reserve_flat_scratch 0
		.amdhsa_float_round_mode_32 0
		.amdhsa_float_round_mode_16_64 0
		.amdhsa_float_denorm_mode_32 3
		.amdhsa_float_denorm_mode_16_64 3
		.amdhsa_dx10_clamp 1
		.amdhsa_ieee_mode 1
		.amdhsa_fp16_overflow 0
		.amdhsa_tg_split 0
		.amdhsa_exception_fp_ieee_invalid_op 0
		.amdhsa_exception_fp_denorm_src 0
		.amdhsa_exception_fp_ieee_div_zero 0
		.amdhsa_exception_fp_ieee_overflow 0
		.amdhsa_exception_fp_ieee_underflow 0
		.amdhsa_exception_fp_ieee_inexact 0
		.amdhsa_exception_int_div_zero 0
	.end_amdhsa_kernel
	.text
.Lfunc_end9:
	.size	_Z16kernel_makeTablePKlPKtS2_S0_Pti, .Lfunc_end9-_Z16kernel_makeTablePKlPKtS2_S0_Pti
                                        ; -- End function
	.section	.AMDGPU.csdata,"",@progbits
; Kernel info:
; codeLenInByte = 276
; NumSgprs: 20
; NumVgprs: 7
; NumAgprs: 0
; TotalNumVgprs: 7
; ScratchSize: 0
; MemoryBound: 0
; FloatMode: 240
; IeeeMode: 1
; LDSByteSize: 0 bytes/workgroup (compile time only)
; SGPRBlocks: 2
; VGPRBlocks: 0
; NumSGPRsForWavesPerEU: 20
; NumVGPRsForWavesPerEU: 7
; AccumOffset: 8
; Occupancy: 8
; WaveLimiterHint : 1
; COMPUTE_PGM_RSRC2:SCRATCH_EN: 0
; COMPUTE_PGM_RSRC2:USER_SGPR: 6
; COMPUTE_PGM_RSRC2:TRAP_HANDLER: 0
; COMPUTE_PGM_RSRC2:TGID_X_EN: 1
; COMPUTE_PGM_RSRC2:TGID_Y_EN: 0
; COMPUTE_PGM_RSRC2:TGID_Z_EN: 0
; COMPUTE_PGM_RSRC2:TIDIG_COMP_CNT: 0
; COMPUTE_PGM_RSRC3_GFX90A:ACCUM_OFFSET: 1
; COMPUTE_PGM_RSRC3_GFX90A:TG_SPLIT: 0
	.text
	.protected	_Z17kernel_cleanTablePKlPKtS2_S0_Pti ; -- Begin function _Z17kernel_cleanTablePKlPKtS2_S0_Pti
	.globl	_Z17kernel_cleanTablePKlPKtS2_S0_Pti
	.p2align	8
	.type	_Z17kernel_cleanTablePKlPKtS2_S0_Pti,@function
_Z17kernel_cleanTablePKlPKtS2_S0_Pti:   ; @_Z17kernel_cleanTablePKlPKtS2_S0_Pti
; %bb.0:
	s_load_dword s0, s[4:5], 0x28
	s_load_dword s2, s[4:5], 0x3c
	s_load_dwordx8 s[8:15], s[4:5], 0x0
	s_waitcnt lgkmcnt(0)
	s_ashr_i32 s1, s0, 31
	s_and_b32 s7, s2, 0xffff
	s_lshl_b64 s[0:1], s[0:1], 3
	s_add_u32 s2, s8, s0
	s_addc_u32 s3, s9, s1
	s_add_u32 s0, s14, s0
	s_load_dword s2, s[2:3], 0x0
	s_addc_u32 s1, s15, s1
	s_load_dword s0, s[0:1], 0x0
	s_mul_i32 s6, s6, s7
	s_waitcnt lgkmcnt(0)
	s_add_i32 s1, s2, s6
	v_add_u32_e32 v0, s1, v0
	s_add_i32 s6, s0, s2
	v_cmp_gt_i32_e32 vcc, s6, v0
	s_and_saveexec_b64 s[0:1], vcc
	s_cbranch_execz .LBB10_5
; %bb.1:
	v_ashrrev_i32_e32 v1, 31, v0
	s_load_dwordx2 s[2:3], s[4:5], 0x20
	v_lshlrev_b64 v[4:5], 1, v[0:1]
	v_mov_b32_e32 v1, s13
	v_add_co_u32_e32 v2, vcc, s12, v4
	v_addc_co_u32_e32 v3, vcc, v1, v5, vcc
	v_mov_b32_e32 v1, s11
	v_add_co_u32_e32 v4, vcc, s10, v4
	v_addc_co_u32_e32 v5, vcc, v1, v5, vcc
	s_mov_b64 s[4:5], 0
	v_mov_b32_e32 v1, 0
	s_branch .LBB10_3
.LBB10_2:                               ;   in Loop: Header=BB10_3 Depth=1
	s_or_b64 exec, exec, s[0:1]
	v_add_co_u32_e32 v2, vcc, 0x8000, v2
	v_add_u32_e32 v0, 0x4000, v0
	v_addc_co_u32_e32 v3, vcc, 0, v3, vcc
	v_add_co_u32_e32 v4, vcc, 0x8000, v4
	v_cmp_le_i32_e64 s[0:1], s6, v0
	s_or_b64 s[4:5], s[0:1], s[4:5]
	v_addc_co_u32_e32 v5, vcc, 0, v5, vcc
	s_andn2_b64 exec, exec, s[4:5]
	s_cbranch_execz .LBB10_5
.LBB10_3:                               ; =>This Inner Loop Header: Depth=1
	global_load_ushort v6, v[2:3], off
	s_waitcnt vmcnt(0)
	v_cmp_ne_u16_e32 vcc, 0, v6
	s_and_saveexec_b64 s[0:1], vcc
	s_cbranch_execz .LBB10_2
; %bb.4:                                ;   in Loop: Header=BB10_3 Depth=1
	global_load_ushort v6, v[4:5], off
	s_waitcnt vmcnt(0)
	v_lshlrev_b32_e32 v6, 1, v6
	s_waitcnt lgkmcnt(0)
	global_store_short v6, v1, s[2:3]
	s_branch .LBB10_2
.LBB10_5:
	s_endpgm
	.section	.rodata,"a",@progbits
	.p2align	6, 0x0
	.amdhsa_kernel _Z17kernel_cleanTablePKlPKtS2_S0_Pti
		.amdhsa_group_segment_fixed_size 0
		.amdhsa_private_segment_fixed_size 0
		.amdhsa_kernarg_size 304
		.amdhsa_user_sgpr_count 6
		.amdhsa_user_sgpr_private_segment_buffer 1
		.amdhsa_user_sgpr_dispatch_ptr 0
		.amdhsa_user_sgpr_queue_ptr 0
		.amdhsa_user_sgpr_kernarg_segment_ptr 1
		.amdhsa_user_sgpr_dispatch_id 0
		.amdhsa_user_sgpr_flat_scratch_init 0
		.amdhsa_user_sgpr_kernarg_preload_length 0
		.amdhsa_user_sgpr_kernarg_preload_offset 0
		.amdhsa_user_sgpr_private_segment_size 0
		.amdhsa_uses_dynamic_stack 0
		.amdhsa_system_sgpr_private_segment_wavefront_offset 0
		.amdhsa_system_sgpr_workgroup_id_x 1
		.amdhsa_system_sgpr_workgroup_id_y 0
		.amdhsa_system_sgpr_workgroup_id_z 0
		.amdhsa_system_sgpr_workgroup_info 0
		.amdhsa_system_vgpr_workitem_id 0
		.amdhsa_next_free_vgpr 7
		.amdhsa_next_free_sgpr 16
		.amdhsa_accum_offset 8
		.amdhsa_reserve_vcc 1
		.amdhsa_reserve_flat_scratch 0
		.amdhsa_float_round_mode_32 0
		.amdhsa_float_round_mode_16_64 0
		.amdhsa_float_denorm_mode_32 3
		.amdhsa_float_denorm_mode_16_64 3
		.amdhsa_dx10_clamp 1
		.amdhsa_ieee_mode 1
		.amdhsa_fp16_overflow 0
		.amdhsa_tg_split 0
		.amdhsa_exception_fp_ieee_invalid_op 0
		.amdhsa_exception_fp_denorm_src 0
		.amdhsa_exception_fp_ieee_div_zero 0
		.amdhsa_exception_fp_ieee_overflow 0
		.amdhsa_exception_fp_ieee_underflow 0
		.amdhsa_exception_fp_ieee_inexact 0
		.amdhsa_exception_int_div_zero 0
	.end_amdhsa_kernel
	.text
.Lfunc_end10:
	.size	_Z17kernel_cleanTablePKlPKtS2_S0_Pti, .Lfunc_end10-_Z17kernel_cleanTablePKlPKtS2_S0_Pti
                                        ; -- End function
	.section	.AMDGPU.csdata,"",@progbits
; Kernel info:
; codeLenInByte = 280
; NumSgprs: 20
; NumVgprs: 7
; NumAgprs: 0
; TotalNumVgprs: 7
; ScratchSize: 0
; MemoryBound: 0
; FloatMode: 240
; IeeeMode: 1
; LDSByteSize: 0 bytes/workgroup (compile time only)
; SGPRBlocks: 2
; VGPRBlocks: 0
; NumSGPRsForWavesPerEU: 20
; NumVGPRsForWavesPerEU: 7
; AccumOffset: 8
; Occupancy: 8
; WaveLimiterHint : 1
; COMPUTE_PGM_RSRC2:SCRATCH_EN: 0
; COMPUTE_PGM_RSRC2:USER_SGPR: 6
; COMPUTE_PGM_RSRC2:TRAP_HANDLER: 0
; COMPUTE_PGM_RSRC2:TGID_X_EN: 1
; COMPUTE_PGM_RSRC2:TGID_Y_EN: 0
; COMPUTE_PGM_RSRC2:TGID_Z_EN: 0
; COMPUTE_PGM_RSRC2:TIDIG_COMP_CNT: 0
; COMPUTE_PGM_RSRC3_GFX90A:ACCUM_OFFSET: 1
; COMPUTE_PGM_RSRC3_GFX90A:TG_SPLIT: 0
	.text
	.protected	_Z12kernel_magicfPKiS0_Piii ; -- Begin function _Z12kernel_magicfPKiS0_Piii
	.globl	_Z12kernel_magicfPKiS0_Piii
	.p2align	8
	.type	_Z12kernel_magicfPKiS0_Piii,@function
_Z12kernel_magicfPKiS0_Piii:            ; @_Z12kernel_magicfPKiS0_Piii
; %bb.0:
	s_load_dword s2, s[4:5], 0x34
	s_load_dwordx2 s[0:1], s[4:5], 0x20
	s_waitcnt lgkmcnt(0)
	s_and_b32 s2, s2, 0xffff
	s_mul_i32 s6, s6, s2
	v_add_u32_e32 v4, s6, v0
	v_cmp_gt_i32_e32 vcc, s1, v4
	s_and_saveexec_b64 s[2:3], vcc
	s_cbranch_execz .LBB11_4
; %bb.1:
	s_load_dwordx2 s[2:3], s[4:5], 0x18
	v_ashrrev_i32_e32 v5, 31, v4
	v_lshlrev_b64 v[2:3], 2, v[4:5]
	s_waitcnt lgkmcnt(0)
	v_mov_b32_e32 v1, s3
	v_add_co_u32_e32 v0, vcc, s2, v2
	v_addc_co_u32_e32 v1, vcc, v1, v3, vcc
	global_load_dword v5, v[0:1], off
	s_waitcnt vmcnt(0)
	v_cmp_gt_i32_e32 vcc, 0, v5
	s_and_b64 exec, exec, vcc
	s_cbranch_execz .LBB11_4
; %bb.2:
	s_load_dwordx4 s[8:11], s[4:5], 0x8
	s_load_dword s6, s[4:5], 0x0
	v_lshlrev_b32_e32 v4, 2, v4
	v_ashrrev_i32_e32 v5, 31, v4
	v_lshlrev_b64 v[4:5], 2, v[4:5]
	s_waitcnt lgkmcnt(0)
	v_mov_b32_e32 v7, s11
	v_add_co_u32_e32 v6, vcc, s10, v4
	v_addc_co_u32_e32 v7, vcc, v7, v5, vcc
	v_mov_b32_e32 v4, s9
	v_add_co_u32_e32 v8, vcc, s8, v2
	v_addc_co_u32_e32 v9, vcc, v4, v3, vcc
	global_load_dword v10, v[8:9], off
	global_load_dwordx4 v[2:5], v[6:7], off
	s_lshl_b32 s0, s0, 2
	s_ashr_i32 s1, s0, 31
	s_lshl_b64 s[0:1], s[0:1], 2
	s_add_u32 s0, s10, s0
	s_addc_u32 s1, s11, s1
	s_load_dwordx4 s[0:3], s[0:1], 0x0
	s_waitcnt vmcnt(1)
	v_cvt_f32_i32_e32 v6, v10
	s_waitcnt vmcnt(0) lgkmcnt(0)
	v_min_i32_e32 v5, s3, v5
	v_min_i32_e32 v3, s1, v3
	;; [unrolled: 1-line block ×3, first 2 shown]
	v_mul_f32_e32 v6, s6, v6
	v_ceil_f32_e32 v6, v6
	v_cvt_i32_f32_e32 v6, v6
	v_min_i32_e32 v2, s0, v2
	v_add_u32_e32 v3, v3, v5
	v_add3_u32 v2, v2, v4, v3
	v_cmp_gt_i32_e32 vcc, v2, v6
	s_and_b64 exec, exec, vcc
	s_cbranch_execz .LBB11_4
; %bb.3:
	v_mov_b32_e32 v2, -2
	global_store_dword v[0:1], v2, off
.LBB11_4:
	s_endpgm
	.section	.rodata,"a",@progbits
	.p2align	6, 0x0
	.amdhsa_kernel _Z12kernel_magicfPKiS0_Piii
		.amdhsa_group_segment_fixed_size 0
		.amdhsa_private_segment_fixed_size 0
		.amdhsa_kernarg_size 296
		.amdhsa_user_sgpr_count 6
		.amdhsa_user_sgpr_private_segment_buffer 1
		.amdhsa_user_sgpr_dispatch_ptr 0
		.amdhsa_user_sgpr_queue_ptr 0
		.amdhsa_user_sgpr_kernarg_segment_ptr 1
		.amdhsa_user_sgpr_dispatch_id 0
		.amdhsa_user_sgpr_flat_scratch_init 0
		.amdhsa_user_sgpr_kernarg_preload_length 0
		.amdhsa_user_sgpr_kernarg_preload_offset 0
		.amdhsa_user_sgpr_private_segment_size 0
		.amdhsa_uses_dynamic_stack 0
		.amdhsa_system_sgpr_private_segment_wavefront_offset 0
		.amdhsa_system_sgpr_workgroup_id_x 1
		.amdhsa_system_sgpr_workgroup_id_y 0
		.amdhsa_system_sgpr_workgroup_id_z 0
		.amdhsa_system_sgpr_workgroup_info 0
		.amdhsa_system_vgpr_workitem_id 0
		.amdhsa_next_free_vgpr 11
		.amdhsa_next_free_sgpr 12
		.amdhsa_accum_offset 12
		.amdhsa_reserve_vcc 1
		.amdhsa_reserve_flat_scratch 0
		.amdhsa_float_round_mode_32 0
		.amdhsa_float_round_mode_16_64 0
		.amdhsa_float_denorm_mode_32 3
		.amdhsa_float_denorm_mode_16_64 3
		.amdhsa_dx10_clamp 1
		.amdhsa_ieee_mode 1
		.amdhsa_fp16_overflow 0
		.amdhsa_tg_split 0
		.amdhsa_exception_fp_ieee_invalid_op 0
		.amdhsa_exception_fp_denorm_src 0
		.amdhsa_exception_fp_ieee_div_zero 0
		.amdhsa_exception_fp_ieee_overflow 0
		.amdhsa_exception_fp_ieee_underflow 0
		.amdhsa_exception_fp_ieee_inexact 0
		.amdhsa_exception_int_div_zero 0
	.end_amdhsa_kernel
	.text
.Lfunc_end11:
	.size	_Z12kernel_magicfPKiS0_Piii, .Lfunc_end11-_Z12kernel_magicfPKiS0_Piii
                                        ; -- End function
	.section	.AMDGPU.csdata,"",@progbits
; Kernel info:
; codeLenInByte = 292
; NumSgprs: 16
; NumVgprs: 11
; NumAgprs: 0
; TotalNumVgprs: 11
; ScratchSize: 0
; MemoryBound: 0
; FloatMode: 240
; IeeeMode: 1
; LDSByteSize: 0 bytes/workgroup (compile time only)
; SGPRBlocks: 1
; VGPRBlocks: 1
; NumSGPRsForWavesPerEU: 16
; NumVGPRsForWavesPerEU: 11
; AccumOffset: 12
; Occupancy: 8
; WaveLimiterHint : 0
; COMPUTE_PGM_RSRC2:SCRATCH_EN: 0
; COMPUTE_PGM_RSRC2:USER_SGPR: 6
; COMPUTE_PGM_RSRC2:TRAP_HANDLER: 0
; COMPUTE_PGM_RSRC2:TGID_X_EN: 1
; COMPUTE_PGM_RSRC2:TGID_Y_EN: 0
; COMPUTE_PGM_RSRC2:TGID_Z_EN: 0
; COMPUTE_PGM_RSRC2:TIDIG_COMP_CNT: 0
; COMPUTE_PGM_RSRC3_GFX90A:ACCUM_OFFSET: 2
; COMPUTE_PGM_RSRC3_GFX90A:TG_SPLIT: 0
	.text
	.protected	_Z13kernel_filterfiPKiPKlPKtS4_S2_S0_PiS4_i ; -- Begin function _Z13kernel_filterfiPKiPKlPKtS4_S2_S0_PiS4_i
	.globl	_Z13kernel_filterfiPKiPKlPKtS4_S2_S0_PiS4_i
	.p2align	8
	.type	_Z13kernel_filterfiPKiPKlPKtS4_S2_S0_PiS4_i,@function
_Z13kernel_filterfiPKiPKlPKtS4_S2_S0_PiS4_i: ; @_Z13kernel_filterfiPKiPKlPKtS4_S2_S0_PiS4_i
; %bb.0:
	s_load_dword s0, s[4:5], 0x48
	s_waitcnt lgkmcnt(0)
	s_cmp_ge_i32 s6, s0
	s_cbranch_scc1 .LBB12_14
; %bb.1:
	s_load_dwordx4 s[16:19], s[4:5], 0x30
	s_ashr_i32 s7, s6, 31
	s_lshl_b64 s[24:25], s[6:7], 2
	s_waitcnt lgkmcnt(0)
	s_add_u32 s2, s18, s24
	s_addc_u32 s3, s19, s25
	s_load_dword s0, s[2:3], 0x0
	s_waitcnt lgkmcnt(0)
	s_cmp_lg_u32 s0, -2
	s_cbranch_scc1 .LBB12_14
; %bb.2:
	s_load_dwordx8 s[8:15], s[4:5], 0x10
	s_lshl_b64 s[6:7], s[6:7], 3
	v_lshlrev_b32_e32 v1, 2, v0
	v_mov_b32_e32 v8, 0
	s_waitcnt lgkmcnt(0)
	s_add_u32 s0, s8, s6
	s_addc_u32 s1, s9, s7
	s_add_u32 s6, s14, s6
	s_load_dword s0, s[0:1], 0x0
	s_addc_u32 s7, s15, s7
	s_load_dword s14, s[6:7], 0x0
	s_load_dwordx4 s[20:23], s[4:5], 0x40
	ds_write_b32 v1, v8
	s_waitcnt lgkmcnt(0)
	v_add_u32_e32 v2, s0, v0
	s_add_i32 s14, s14, s0
	v_cmp_gt_i32_e32 vcc, s14, v2
	s_and_saveexec_b64 s[4:5], vcc
	s_cbranch_execz .LBB12_12
; %bb.3:
	v_add_u32_e32 v3, 0x80, v2
	v_max_i32_e32 v4, s14, v3
	v_xad_u32 v4, v0, -1, v4
	v_subrev_u32_e32 v4, s0, v4
	s_movk_i32 s0, 0x7f
	v_cmp_lt_u32_e32 vcc, s0, v4
	s_mov_b64 s[8:9], -1
	s_and_saveexec_b64 s[0:1], vcc
	s_cbranch_execz .LBB12_7
; %bb.4:
	v_lshrrev_b32_e32 v4, 7, v4
	v_add_u32_e32 v6, 1, v4
	v_and_b32_e32 v7, 0x3fffffe, v6
	s_mov_b64 s[6:7], 0
	v_mov_b32_e32 v8, 0
	v_mov_b32_e32 v9, s11
	s_mov_b32 s8, 0x5040100
	v_mov_b32_e32 v10, s13
	v_mov_b32_e32 v11, 1
	;; [unrolled: 1-line block ×3, first 2 shown]
	v_pk_mov_b32 v[4:5], v[2:3], v[2:3] op_sel:[0,1]
	v_mov_b32_e32 v3, 0
.LBB12_5:                               ; =>This Inner Loop Header: Depth=1
	v_ashrrev_i32_e32 v17, 31, v4
	v_mov_b32_e32 v16, v4
	v_lshlrev_b64 v[16:17], 1, v[16:17]
	v_ashrrev_i32_e32 v15, 31, v5
	v_mov_b32_e32 v14, v5
	v_add_co_u32_e32 v18, vcc, s10, v16
	v_lshlrev_b64 v[14:15], 1, v[14:15]
	v_addc_co_u32_e32 v19, vcc, v9, v17, vcc
	v_add_co_u32_e32 v20, vcc, s10, v14
	v_addc_co_u32_e32 v21, vcc, v9, v15, vcc
	global_load_ushort v13, v[18:19], off
	global_load_ushort v22, v[20:21], off
	v_add_co_u32_e32 v16, vcc, s12, v16
	v_addc_co_u32_e32 v17, vcc, v10, v17, vcc
	v_add_co_u32_e32 v14, vcc, s12, v14
	v_addc_co_u32_e32 v15, vcc, v10, v15, vcc
	global_load_ushort v18, v[16:17], off
	global_load_ushort v19, v[14:15], off
	v_add_u32_e32 v12, -2, v12
	v_cmp_eq_u32_e32 vcc, 0, v12
	v_add_u32_e32 v5, 0x100, v5
	v_add_u32_e32 v4, 0x100, v4
	s_or_b64 s[6:7], vcc, s[6:7]
	s_waitcnt vmcnt(3)
	v_lshlrev_b32_sdwa v13, v11, v13 dst_sel:DWORD dst_unused:UNUSED_PAD src0_sel:DWORD src1_sel:WORD_0
	s_waitcnt vmcnt(2)
	v_lshlrev_b32_sdwa v14, v11, v22 dst_sel:DWORD dst_unused:UNUSED_PAD src0_sel:DWORD src1_sel:WORD_0
	global_load_ushort v15, v13, s[20:21]
	global_load_ushort v16, v14, s[20:21]
	s_waitcnt vmcnt(2)
	v_perm_b32 v13, v19, v18, s8
	s_waitcnt vmcnt(0)
	v_perm_b32 v14, v16, v15, s8
	v_pk_min_u16 v13, v14, v13
	v_add_u32_sdwa v3, v3, v13 dst_sel:DWORD dst_unused:UNUSED_PAD src0_sel:DWORD src1_sel:WORD_1
	v_add_u32_sdwa v8, v8, v13 dst_sel:DWORD dst_unused:UNUSED_PAD src0_sel:DWORD src1_sel:WORD_0
	s_andn2_b64 exec, exec, s[6:7]
	s_cbranch_execnz .LBB12_5
; %bb.6:
	s_or_b64 exec, exec, s[6:7]
	v_cmp_ne_u32_e32 vcc, v6, v7
	v_lshl_add_u32 v2, v7, 7, v2
	v_add_u32_e32 v8, v8, v3
	s_orn2_b64 s[8:9], vcc, exec
.LBB12_7:
	s_or_b64 exec, exec, s[0:1]
	s_and_saveexec_b64 s[6:7], s[8:9]
	s_cbranch_execz .LBB12_11
; %bb.8:
	v_ashrrev_i32_e32 v3, 31, v2
	v_lshlrev_b64 v[6:7], 1, v[2:3]
	v_mov_b32_e32 v3, s11
	v_add_co_u32_e32 v4, vcc, s10, v6
	v_addc_co_u32_e32 v5, vcc, v3, v7, vcc
	v_mov_b32_e32 v3, s13
	v_add_co_u32_e32 v6, vcc, s12, v6
	v_addc_co_u32_e32 v7, vcc, v3, v7, vcc
	s_mov_b64 s[8:9], 0
.LBB12_9:                               ; =>This Inner Loop Header: Depth=1
	global_load_ushort v3, v[4:5], off
	global_load_ushort v9, v[6:7], off
	v_add_co_u32_e32 v4, vcc, 0x100, v4
	v_add_u32_e32 v2, 0x80, v2
	v_addc_co_u32_e32 v5, vcc, 0, v5, vcc
	v_add_co_u32_e32 v6, vcc, 0x100, v6
	v_cmp_le_i32_e64 s[0:1], s14, v2
	v_addc_co_u32_e32 v7, vcc, 0, v7, vcc
	s_or_b64 s[8:9], s[0:1], s[8:9]
	s_waitcnt vmcnt(1)
	v_lshlrev_b32_e32 v3, 1, v3
	global_load_ushort v3, v3, s[20:21]
	s_waitcnt vmcnt(0)
	v_min_u16_e32 v3, v3, v9
	v_add_u32_e32 v8, v8, v3
	s_andn2_b64 exec, exec, s[8:9]
	s_cbranch_execnz .LBB12_9
; %bb.10:
	s_or_b64 exec, exec, s[8:9]
.LBB12_11:
	s_or_b64 exec, exec, s[6:7]
	ds_write_b32 v1, v8
.LBB12_12:
	s_or_b64 exec, exec, s[4:5]
	v_cmp_eq_u32_e32 vcc, 0, v0
	s_waitcnt lgkmcnt(0)
	s_barrier
	s_and_saveexec_b64 s[0:1], vcc
	s_cbranch_execz .LBB12_14
; %bb.13:
	v_mov_b32_e32 v0, 0
	ds_read_b128 v[2:5], v0
	ds_read_b128 v[6:9], v0 offset:16
	ds_read_b128 v[10:13], v0 offset:32
	;; [unrolled: 1-line block ×3, first 2 shown]
	s_add_u32 s0, s16, s24
	s_waitcnt lgkmcnt(3)
	v_add_u32_e32 v1, v2, v3
	v_add_u32_e32 v1, v1, v4
	;; [unrolled: 1-line block ×3, first 2 shown]
	s_waitcnt lgkmcnt(2)
	v_add_u32_e32 v1, v1, v6
	v_add_u32_e32 v1, v1, v7
	;; [unrolled: 1-line block ×4, first 2 shown]
	s_waitcnt lgkmcnt(1)
	v_add_u32_e32 v1, v1, v10
	v_add_u32_e32 v1, v1, v11
	;; [unrolled: 1-line block ×4, first 2 shown]
	ds_read_b128 v[2:5], v0 offset:64
	ds_read_b128 v[6:9], v0 offset:80
	s_waitcnt lgkmcnt(2)
	v_add_u32_e32 v1, v1, v14
	v_add_u32_e32 v1, v1, v15
	;; [unrolled: 1-line block ×4, first 2 shown]
	s_waitcnt lgkmcnt(1)
	v_add_u32_e32 v1, v1, v2
	v_add_u32_e32 v1, v1, v3
	v_add_u32_e32 v1, v1, v4
	v_add_u32_e32 v1, v1, v5
	ds_read_b128 v[2:5], v0 offset:96
	s_waitcnt lgkmcnt(1)
	v_add_u32_e32 v1, v1, v6
	v_add_u32_e32 v1, v1, v7
	v_add_u32_e32 v1, v1, v8
	v_add_u32_e32 v1, v1, v9
	ds_read_b128 v[6:9], v0 offset:112
	;; [unrolled: 6-line block ×26, first 2 shown]
	s_waitcnt lgkmcnt(1)
	v_add_u32_e32 v1, v1, v2
	v_add_u32_e32 v1, v1, v3
	;; [unrolled: 1-line block ×3, first 2 shown]
	s_addc_u32 s1, s17, s25
	v_add_u32_e32 v1, v1, v5
	s_load_dword s0, s[0:1], 0x0
	s_waitcnt lgkmcnt(0)
	v_add_u32_e32 v1, v1, v6
	v_add_u32_e32 v1, v1, v7
	;; [unrolled: 1-line block ×4, first 2 shown]
	v_cmp_lt_i32_e32 vcc, s0, v1
	ds_write_b32 v0, v1
	v_cndmask_b32_e64 v1, -1, -3, vcc
	s_waitcnt lgkmcnt(0)
	global_store_dword v0, v1, s[2:3]
.LBB12_14:
	s_endpgm
	.section	.rodata,"a",@progbits
	.p2align	6, 0x0
	.amdhsa_kernel _Z13kernel_filterfiPKiPKlPKtS4_S2_S0_PiS4_i
		.amdhsa_group_segment_fixed_size 512
		.amdhsa_private_segment_fixed_size 0
		.amdhsa_kernarg_size 76
		.amdhsa_user_sgpr_count 6
		.amdhsa_user_sgpr_private_segment_buffer 1
		.amdhsa_user_sgpr_dispatch_ptr 0
		.amdhsa_user_sgpr_queue_ptr 0
		.amdhsa_user_sgpr_kernarg_segment_ptr 1
		.amdhsa_user_sgpr_dispatch_id 0
		.amdhsa_user_sgpr_flat_scratch_init 0
		.amdhsa_user_sgpr_kernarg_preload_length 0
		.amdhsa_user_sgpr_kernarg_preload_offset 0
		.amdhsa_user_sgpr_private_segment_size 0
		.amdhsa_uses_dynamic_stack 0
		.amdhsa_system_sgpr_private_segment_wavefront_offset 0
		.amdhsa_system_sgpr_workgroup_id_x 1
		.amdhsa_system_sgpr_workgroup_id_y 0
		.amdhsa_system_sgpr_workgroup_id_z 0
		.amdhsa_system_sgpr_workgroup_info 0
		.amdhsa_system_vgpr_workitem_id 0
		.amdhsa_next_free_vgpr 23
		.amdhsa_next_free_sgpr 26
		.amdhsa_accum_offset 24
		.amdhsa_reserve_vcc 1
		.amdhsa_reserve_flat_scratch 0
		.amdhsa_float_round_mode_32 0
		.amdhsa_float_round_mode_16_64 0
		.amdhsa_float_denorm_mode_32 3
		.amdhsa_float_denorm_mode_16_64 3
		.amdhsa_dx10_clamp 1
		.amdhsa_ieee_mode 1
		.amdhsa_fp16_overflow 0
		.amdhsa_tg_split 0
		.amdhsa_exception_fp_ieee_invalid_op 0
		.amdhsa_exception_fp_denorm_src 0
		.amdhsa_exception_fp_ieee_div_zero 0
		.amdhsa_exception_fp_ieee_overflow 0
		.amdhsa_exception_fp_ieee_underflow 0
		.amdhsa_exception_fp_ieee_inexact 0
		.amdhsa_exception_int_div_zero 0
	.end_amdhsa_kernel
	.text
.Lfunc_end12:
	.size	_Z13kernel_filterfiPKiPKlPKtS4_S2_S0_PiS4_i, .Lfunc_end12-_Z13kernel_filterfiPKiPKlPKtS4_S2_S0_PiS4_i
                                        ; -- End function
	.section	.AMDGPU.csdata,"",@progbits
; Kernel info:
; codeLenInByte = 1648
; NumSgprs: 30
; NumVgprs: 23
; NumAgprs: 0
; TotalNumVgprs: 23
; ScratchSize: 0
; MemoryBound: 0
; FloatMode: 240
; IeeeMode: 1
; LDSByteSize: 512 bytes/workgroup (compile time only)
; SGPRBlocks: 3
; VGPRBlocks: 2
; NumSGPRsForWavesPerEU: 30
; NumVGPRsForWavesPerEU: 23
; AccumOffset: 24
; Occupancy: 8
; WaveLimiterHint : 1
; COMPUTE_PGM_RSRC2:SCRATCH_EN: 0
; COMPUTE_PGM_RSRC2:USER_SGPR: 6
; COMPUTE_PGM_RSRC2:TRAP_HANDLER: 0
; COMPUTE_PGM_RSRC2:TGID_X_EN: 1
; COMPUTE_PGM_RSRC2:TGID_Y_EN: 0
; COMPUTE_PGM_RSRC2:TGID_Z_EN: 0
; COMPUTE_PGM_RSRC2:TIDIG_COMP_CNT: 0
; COMPUTE_PGM_RSRC3_GFX90A:ACCUM_OFFSET: 5
; COMPUTE_PGM_RSRC3_GFX90A:TG_SPLIT: 0
	.text
	.protected	_Z12kernel_alignfPKiPKlPKjS0_iPii ; -- Begin function _Z12kernel_alignfPKiPKlPKjS0_iPii
	.globl	_Z12kernel_alignfPKiPKlPKjS0_iPii
	.p2align	8
	.type	_Z12kernel_alignfPKiPKlPKjS0_iPii,@function
_Z12kernel_alignfPKiPKlPKjS0_iPii:      ; @_Z12kernel_alignfPKiPKlPKjS0_iPii
; %bb.0:
	s_load_dword s6, s[4:5], 0x4c
	s_load_dword s7, s[4:5], 0x38
	s_add_u32 s0, s0, s9
	s_addc_u32 s1, s1, 0
	s_waitcnt lgkmcnt(0)
	s_and_b32 s6, s6, 0xffff
	s_mul_i32 s8, s8, s6
	v_add_u32_e32 v2, s8, v0
	v_cmp_gt_i32_e32 vcc, s7, v2
	s_and_saveexec_b64 s[6:7], vcc
	s_cbranch_execz .LBB13_48
; %bb.1:
	s_load_dwordx2 s[6:7], s[4:5], 0x30
	v_ashrrev_i32_e32 v3, 31, v2
	v_lshlrev_b64 v[4:5], 2, v[2:3]
	s_waitcnt lgkmcnt(0)
	v_mov_b32_e32 v1, s7
	v_add_co_u32_e32 v0, vcc, s6, v4
	v_addc_co_u32_e32 v1, vcc, v1, v5, vcc
	global_load_dword v6, v[0:1], off
	s_waitcnt vmcnt(0)
	v_cmp_eq_u32_e32 vcc, -3, v6
	s_and_b64 exec, exec, vcc
	s_cbranch_execz .LBB13_48
; %bb.2:
	s_load_dwordx8 s[8:15], s[4:5], 0x8
	v_lshlrev_b64 v[2:3], 3, v[2:3]
	s_load_dword s16, s[4:5], 0x28
	s_waitcnt lgkmcnt(0)
	v_mov_b32_e32 v6, s9
	v_add_co_u32_e32 v8, vcc, s8, v4
	v_addc_co_u32_e32 v9, vcc, v6, v5, vcc
	v_mov_b32_e32 v7, s15
	v_add_co_u32_e32 v4, vcc, s14, v4
	v_addc_co_u32_e32 v5, vcc, v7, v5, vcc
	global_load_dword v7, v[4:5], off
	v_mov_b32_e32 v5, s11
	v_add_co_u32_e32 v4, vcc, s10, v2
	v_addc_co_u32_e32 v5, vcc, v5, v3, vcc
	global_load_dwordx2 v[2:3], v[4:5], off
	global_load_dword v6, v[8:9], off
	s_ashr_i32 s17, s16, 31
	s_lshl_b64 s[6:7], s[16:17], 2
	s_add_u32 s8, s8, s6
	s_addc_u32 s9, s9, s7
	s_add_u32 s6, s14, s6
	s_addc_u32 s7, s15, s7
	s_load_dword s14, s[6:7], 0x0
	s_lshl_b64 s[6:7], s[16:17], 3
	s_add_u32 s18, s10, s6
	s_addc_u32 s19, s11, s7
	s_load_dwordx2 s[6:7], s[18:19], 0x0
	s_load_dword s10, s[8:9], 0x0
	v_mov_b32_e32 v4, 0x1770
	v_mov_b32_e32 v8, 16
	s_mov_b64 s[8:9], 0
	v_mov_b32_e32 v9, 0
	v_mov_b32_e32 v5, 0
.LBB13_3:                               ; =>This Inner Loop Header: Depth=1
	s_add_u32 s8, s8, 1
	s_addc_u32 s9, s9, 0
	v_cmp_lt_u64_e32 vcc, s[8:9], v[4:5]
	buffer_store_byte v9, v8, s[0:3], 0 offen
	v_add_u32_e32 v8, 1, v8
	s_cbranch_vccnz .LBB13_3
; %bb.4:
	v_mov_b32_e32 v4, 0x1770
	v_mov_b32_e32 v8, 0x1780
	s_mov_b64 s[8:9], 0
	v_mov_b32_e32 v9, 0
	v_mov_b32_e32 v5, 0
.LBB13_5:                               ; =>This Inner Loop Header: Depth=1
	s_add_u32 s8, s8, 1
	s_addc_u32 s9, s9, 0
	v_cmp_lt_u64_e32 vcc, s[8:9], v[4:5]
	buffer_store_byte v9, v8, s[0:3], 0 offen
	v_add_u32_e32 v8, 1, v8
	s_cbranch_vccnz .LBB13_5
; %bb.6:
	v_mov_b32_e32 v4, 0
	v_mov_b32_e32 v5, 0x2ef0
	buffer_store_dword v4, v5, s[0:3], 0 offen offset:140
	v_mov_b32_e32 v5, 0x2ef0
	buffer_store_dword v4, v5, s[0:3], 0 offen offset:136
	;; [unrolled: 2-line block ×10, first 2 shown]
	v_mov_b32_e32 v5, 0x2ef0
	s_waitcnt vmcnt(12)
	v_sub_u32_e32 v8, v6, v7
	buffer_store_dword v4, v5, s[0:3], 0 offen offset:100
	v_mov_b32_e32 v5, 0x2ef0
	buffer_store_dword v4, v5, s[0:3], 0 offen offset:96
	v_mov_b32_e32 v5, 0x2ef0
	v_cmp_lt_i32_e32 vcc, -16, v8
	buffer_store_dword v4, v5, s[0:3], 0 offen offset:144
	s_and_b64 exec, exec, vcc
	s_cbranch_execz .LBB13_48
; %bb.7:
	s_load_dword s4, s[4:5], 0x0
	v_cvt_f32_i32_e32 v5, v6
	s_waitcnt lgkmcnt(0)
	s_sub_i32 s17, s10, s14
	v_ashrrev_i32_e32 v6, 31, v8
	v_lshrrev_b32_e32 v6, 28, v6
	v_mul_f32_e32 v5, s4, v5
	s_ashr_i32 s4, s7, 31
	s_lshr_b32 s4, s4, 28
	s_add_u32 s4, s6, s4
	s_addc_u32 s5, s7, 0
	v_mov_b32_e32 v7, s4
	v_alignbit_b32 v7, s5, v7, 4
	v_readfirstlane_b32 s26, v7
	v_ashrrev_i32_e32 v7, 31, v3
	v_lshrrev_b32_e32 v7, 28, v7
	s_ashr_i32 s4, s17, 31
	v_add_co_u32_e32 v2, vcc, v2, v7
	s_lshr_b32 s4, s4, 28
	v_add_u32_e32 v9, v8, v6
	v_addc_co_u32_e32 v3, vcc, 0, v3, vcc
	s_add_i32 s4, s17, s4
	v_ceil_f32_e32 v5, v5
	v_alignbit_b32 v7, v3, v2, 4
	s_ashr_i32 s27, s4, 4
	v_and_b32_e32 v2, 0x3ffffff0, v9
	v_cvt_i32_f32_e32 v5, v5
	s_cmp_gt_i32 s17, -16
	v_sub_u32_e32 v2, v8, v2
	v_lshlrev_b32_e32 v2, 2, v2
	s_cselect_b64 s[4:5], -1, 0
	v_ashrrev_i32_e32 v6, 4, v9
	v_add_u32_e32 v8, 0x2ef0, v2
	v_add_u32_e32 v9, 0x2f40, v2
	v_cndmask_b32_e64 v2, 0, 1, s[4:5]
	s_mov_b64 s[8:9], 0
	v_mov_b32_e32 v10, s13
	v_cmp_ne_u32_e64 s[4:5], 1, v2
	v_mov_b32_e32 v11, 0x1780
	v_mov_b32_e32 v13, 0
	;; [unrolled: 1-line block ×3, first 2 shown]
	s_branch .LBB13_11
.LBB13_8:                               ;   in Loop: Header=BB13_11 Depth=1
	s_or_b64 exec, exec, s[14:15]
.LBB13_9:                               ;   in Loop: Header=BB13_11 Depth=1
	v_cmp_ne_u32_e32 vcc, 23, v40
	v_cndmask_b32_e32 v32, 0, v40, vcc
.LBB13_10:                              ;   in Loop: Header=BB13_11 Depth=1
	s_or_b64 exec, exec, s[10:11]
	v_cmp_ne_u32_e32 vcc, 0, v32
	v_cmp_ge_i32_e64 s[6:7], v12, v6
	s_or_b64 s[6:7], vcc, s[6:7]
	v_add_u32_e32 v2, 1, v12
	s_and_b64 s[6:7], exec, s[6:7]
	s_or_b64 s[8:9], s[6:7], s[8:9]
	v_mov_b32_e32 v12, v2
	s_andn2_b64 exec, exec, s[8:9]
	s_cbranch_execz .LBB13_47
.LBB13_11:                              ; =>This Loop Header: Depth=1
                                        ;     Child Loop BB13_14 Depth 2
                                        ;       Child Loop BB13_16 Depth 3
                                        ;     Child Loop BB13_33 Depth 2
                                        ;       Child Loop BB13_35 Depth 3
	v_mov_b32_e32 v2, 0x2ef0
	buffer_store_dword v4, v2, s[0:3], 0 offen offset:4
	v_mov_b32_e32 v2, 0x2ef0
	buffer_store_dword v4, v2, s[0:3], 0 offen
	v_mov_b32_e32 v2, 0x2ef0
	buffer_store_dword v4, v2, s[0:3], 0 offen offset:84
	v_mov_b32_e32 v2, 0x2ef0
	buffer_store_dword v4, v2, s[0:3], 0 offen offset:80
	;; [unrolled: 2-line block ×21, first 2 shown]
	v_add_u32_e32 v2, v12, v7
	v_ashrrev_i32_e32 v3, 31, v2
	v_lshlrev_b64 v[2:3], 2, v[2:3]
	v_add_co_u32_e64 v2, s[6:7], s12, v2
	s_and_b64 vcc, exec, s[4:5]
	v_addc_co_u32_e64 v3, s[6:7], v10, v3, s[6:7]
	s_cbranch_vccnz .LBB13_28
; %bb.12:                               ;   in Loop: Header=BB13_11 Depth=1
	global_load_dword v15, v[2:3], off
	v_cmp_eq_u32_e32 vcc, v12, v6
	s_mov_b32 s24, 0
	s_mov_b64 s[10:11], 0
	v_mov_b32_e32 v71, 0
	v_mov_b32_e32 v65, 0
	;; [unrolled: 1-line block ×18, first 2 shown]
	s_waitcnt vmcnt(0)
	v_lshrrev_b32_e32 v16, 30, v15
	v_lshrrev_b32_e32 v17, 28, v15
	;; [unrolled: 1-line block ×13, first 2 shown]
	s_branch .LBB13_14
.LBB13_13:                              ;   in Loop: Header=BB13_14 Depth=2
	s_or_b64 exec, exec, s[18:19]
	s_and_b64 s[6:7], exec, s[14:15]
	s_or_b64 s[10:11], s[6:7], s[10:11]
	s_andn2_b64 exec, exec, s[10:11]
	s_cbranch_execz .LBB13_29
.LBB13_14:                              ;   Parent Loop BB13_11 Depth=1
                                        ; =>  This Loop Header: Depth=2
                                        ;       Child Loop BB13_16 Depth 3
	s_add_i32 s6, s24, s26
	s_ashr_i32 s7, s6, 31
	s_lshl_b64 s[6:7], s[6:7], 2
	s_add_u32 s6, s12, s6
	v_lshl_add_u32 v13, v29, 1, v11
	s_addc_u32 s7, s13, s7
	buffer_load_sshort v30, v13, s[0:3], 0 offen
	global_load_dword v31, v4, s[6:7]
	v_mov_b32_e32 v51, 30
	s_mov_b64 s[14:15], 0
	v_mov_b32_e32 v66, v71
	v_mov_b32_e32 v67, v65
	v_mov_b32_e32 v68, v64
	v_mov_b32_e32 v69, v63
	v_mov_b32_e32 v70, v62
	v_mov_b32_e32 v72, v61
	v_mov_b32_e32 v73, v60
	v_mov_b32_e32 v74, v59
	v_mov_b32_e32 v75, v58
	v_mov_b32_e32 v76, v57
	v_mov_b32_e32 v77, v56
	v_mov_b32_e32 v78, v55
	v_mov_b32_e32 v79, v54
	v_mov_b32_e32 v80, v53
	v_mov_b32_e32 v81, v52
	v_mov_b32_e32 v47, v71
	v_mov_b32_e32 v46, v65
	v_mov_b32_e32 v45, v64
	v_mov_b32_e32 v44, v63
	v_mov_b32_e32 v43, v62
	v_mov_b32_e32 v42, v61
	v_mov_b32_e32 v41, v60
	v_mov_b32_e32 v40, v59
	v_mov_b32_e32 v39, v58
	v_mov_b32_e32 v38, v57
	v_mov_b32_e32 v37, v56
	v_mov_b32_e32 v36, v55
	v_mov_b32_e32 v35, v54
	v_mov_b32_e32 v34, v53
	v_mov_b32_e32 v13, 0x2ef0
	v_mov_b32_e32 v33, v52
	v_mov_b32_e32 v83, v14
	v_mov_b32_e32 v84, v50
	v_mov_b32_e32 v48, v50
	s_waitcnt vmcnt(1)
	buffer_store_dword v30, v13, s[0:3], 0 offen
	s_branch .LBB13_16
.LBB13_15:                              ;   in Loop: Header=BB13_16 Depth=3
	s_or_b64 exec, exec, s[20:21]
	s_and_b64 s[6:7], exec, s[6:7]
	s_or_b64 s[14:15], s[6:7], s[14:15]
	v_mov_b32_e32 v66, v71
	v_mov_b32_e32 v67, v65
	;; [unrolled: 1-line block ×17, first 2 shown]
	s_andn2_b64 exec, exec, s[14:15]
	s_cbranch_execz .LBB13_26
.LBB13_16:                              ;   Parent Loop BB13_11 Depth=1
                                        ;     Parent Loop BB13_14 Depth=2
                                        ; =>    This Inner Loop Header: Depth=3
	v_lshlrev_b32_e32 v32, 1, v29
	v_add_u32_e32 v85, 0x1780, v32
	buffer_load_sshort v14, v85, s[0:3], 0 offen offset:2
	s_waitcnt vmcnt(2)
	v_lshrrev_b32_e32 v13, v51, v31
	v_bfe_u32 v50, v31, v51, 2
	v_cmp_eq_u32_e64 s[6:7], v16, v50
	v_xor_b32_e32 v52, v17, v13
	v_addc_co_u32_e64 v50, s[6:7], 0, v30, s[6:7]
	v_and_b32_e32 v52, 3, v52
	v_xor_b32_e32 v53, v18, v13
	v_cmp_eq_u32_e64 s[6:7], 0, v52
	v_and_b32_e32 v53, 3, v53
	v_addc_co_u32_e64 v52, s[6:7], 0, v33, s[6:7]
	v_xor_b32_sdwa v54, v15, v13 dst_sel:DWORD dst_unused:UNUSED_PAD src0_sel:BYTE_3 src1_sel:DWORD
	v_cmp_eq_u32_e64 s[6:7], 0, v53
	v_and_b32_e32 v54, 3, v54
	v_addc_co_u32_e64 v53, s[6:7], 0, v34, s[6:7]
	v_xor_b32_e32 v55, v19, v13
	v_cmp_eq_u32_e64 s[6:7], 0, v54
	v_and_b32_e32 v55, 3, v55
	v_addc_co_u32_e64 v54, s[6:7], 0, v35, s[6:7]
	v_xor_b32_e32 v56, v20, v13
	;; [unrolled: 4-line block ×3, first 2 shown]
	v_cmp_eq_u32_e64 s[6:7], 0, v56
	v_and_b32_e32 v57, 3, v57
	v_addc_co_u32_e64 v64, s[6:7], 0, v37, s[6:7]
	v_xor_b32_sdwa v58, v15, v13 dst_sel:DWORD dst_unused:UNUSED_PAD src0_sel:WORD_1 src1_sel:DWORD
	v_cmp_eq_u32_e64 s[6:7], 0, v57
	v_and_b32_e32 v58, 3, v58
	v_addc_co_u32_e64 v65, s[6:7], 0, v38, s[6:7]
	v_xor_b32_e32 v59, v22, v13
	v_cmp_eq_u32_e64 s[6:7], 0, v58
	v_and_b32_e32 v59, 3, v59
	v_addc_co_u32_e64 v71, s[6:7], 0, v39, s[6:7]
	v_xor_b32_e32 v60, v23, v13
	v_cmp_eq_u32_e64 s[6:7], 0, v59
	v_mov_b32_e32 v56, 0x2ef0
	v_and_b32_e32 v60, 3, v60
	v_addc_co_u32_e64 v82, s[6:7], 0, v40, s[6:7]
	v_xor_b32_e32 v61, v24, v13
	v_cmp_eq_u32_e64 s[6:7], 0, v60
	v_and_b32_e32 v61, 3, v61
	v_addc_co_u32_e64 v86, s[6:7], 0, v41, s[6:7]
	v_xor_b32_e32 v62, v25, v13
	v_cmp_eq_u32_e64 s[6:7], 0, v61
	;; [unrolled: 4-line block ×3, first 2 shown]
	v_and_b32_e32 v63, 3, v63
	v_addc_co_u32_e64 v88, s[6:7], 0, v43, s[6:7]
	v_cmp_eq_u32_e64 s[6:7], 0, v63
	v_addc_co_u32_e64 v89, s[6:7], 0, v44, s[6:7]
	v_add_u32_e32 v49, 1, v29
	s_mov_b64 s[20:21], 0
                                        ; implicit-def: $sgpr18_sgpr19
	s_waitcnt vmcnt(0)
	buffer_store_dword v14, v56, s[0:3], 0 offen offset:80
	v_max3_i32 v56, v50, v14, v33
	v_mov_b32_e32 v50, 0x2ef0
	buffer_store_dword v56, v50, s[0:3], 0 offen offset:84
	v_max3_i32 v57, v52, v56, v34
	v_mov_b32_e32 v50, 0x2ef0
	;; [unrolled: 3-line block ×13, first 2 shown]
	buffer_store_dword v50, v52, s[0:3], 0 offen offset:132
	v_xor_b32_e32 v52, v27, v13
	v_and_b32_e32 v52, 3, v52
	v_cmp_eq_u32_e64 s[6:7], 0, v52
	v_addc_co_u32_e64 v52, s[6:7], 0, v45, s[6:7]
	v_max3_i32 v52, v52, v50, v46
	v_mov_b32_e32 v53, 0x2ef0
	buffer_store_dword v52, v53, s[0:3], 0 offen offset:136
	v_xor_b32_e32 v53, v28, v13
	v_and_b32_e32 v53, 3, v53
	v_cmp_eq_u32_e64 s[6:7], 0, v53
	v_xor_b32_e32 v13, v15, v13
	v_addc_co_u32_e64 v53, s[6:7], 0, v46, s[6:7]
	v_and_b32_e32 v13, 3, v13
	v_cmp_eq_u32_e64 s[6:7], 0, v13
	v_max3_i32 v53, v53, v52, v47
	v_mov_b32_e32 v55, 0x2ef0
	v_addc_co_u32_e64 v13, s[6:7], 0, v47, s[6:7]
	buffer_store_dword v53, v55, s[0:3], 0 offen offset:140
	v_max3_i32 v13, v13, v53, v48
	v_add_u32_e32 v55, 16, v32
	v_cmp_ne_u32_e64 s[6:7], s17, v49
	buffer_store_short v13, v55, s[0:3], 0 offen offset:2
                                        ; implicit-def: $vgpr49
                                        ; implicit-def: $vgpr82
                                        ; implicit-def: $vgpr32
	s_and_saveexec_b64 s[22:23], s[6:7]
	s_xor_b64 s[22:23], exec, s[22:23]
	s_cbranch_execz .LBB13_20
; %bb.17:                               ;   in Loop: Header=BB13_16 Depth=3
	buffer_load_sshort v30, v85, s[0:3], 0 offen offset:4
	v_add_u32_e32 v49, -2, v51
	v_lshrrev_b32_e32 v48, v49, v31
	v_bfe_u32 v33, v31, v49, 2
	v_cmp_eq_u32_e64 s[6:7], v16, v33
	v_xor_b32_e32 v33, v17, v48
	v_addc_co_u32_e64 v14, s[6:7], 0, v14, s[6:7]
	v_and_b32_e32 v33, 3, v33
	v_xor_b32_e32 v34, v18, v48
	v_xor_b32_e32 v44, v26, v48
	v_cmp_eq_u32_e64 s[6:7], 0, v33
	v_and_b32_e32 v34, 3, v34
	v_and_b32_e32 v45, 3, v44
	v_addc_co_u32_e64 v44, s[6:7], 0, v56, s[6:7]
	v_xor_b32_sdwa v35, v15, v48 dst_sel:DWORD dst_unused:UNUSED_PAD src0_sel:BYTE_3 src1_sel:DWORD
	v_cmp_eq_u32_e64 s[6:7], 0, v34
	v_and_b32_e32 v35, 3, v35
	v_addc_co_u32_e64 v46, s[6:7], 0, v57, s[6:7]
	v_xor_b32_e32 v36, v19, v48
	v_cmp_eq_u32_e64 s[6:7], 0, v35
	v_and_b32_e32 v36, 3, v36
	v_addc_co_u32_e64 v47, s[6:7], 0, v58, s[6:7]
	v_xor_b32_e32 v37, v20, v48
	v_cmp_eq_u32_e64 s[6:7], 0, v36
	v_and_b32_e32 v37, 3, v37
	v_addc_co_u32_e64 v51, s[6:7], 0, v59, s[6:7]
	v_xor_b32_e32 v38, v21, v48
	v_cmp_eq_u32_e64 s[6:7], 0, v37
	v_and_b32_e32 v38, 3, v38
	v_addc_co_u32_e64 v66, s[6:7], 0, v60, s[6:7]
	v_xor_b32_sdwa v39, v15, v48 dst_sel:DWORD dst_unused:UNUSED_PAD src0_sel:WORD_1 src1_sel:DWORD
	v_cmp_eq_u32_e64 s[6:7], 0, v38
	v_mov_b32_e32 v33, 0x2ef0
	v_and_b32_e32 v39, 3, v39
	v_addc_co_u32_e64 v67, s[6:7], 0, v61, s[6:7]
	v_xor_b32_e32 v40, v22, v48
	v_cmp_eq_u32_e64 s[6:7], 0, v39
	v_and_b32_e32 v40, 3, v40
	v_addc_co_u32_e64 v68, s[6:7], 0, v62, s[6:7]
	v_xor_b32_e32 v41, v23, v48
	v_cmp_eq_u32_e64 s[6:7], 0, v40
	;; [unrolled: 4-line block ×4, first 2 shown]
	v_and_b32_e32 v43, 3, v43
	v_addc_co_u32_e64 v72, s[6:7], 0, v65, s[6:7]
	v_cmp_eq_u32_e64 s[6:7], 0, v43
	v_addc_co_u32_e64 v73, s[6:7], 0, v71, s[6:7]
	v_cmp_eq_u32_e64 s[6:7], 0, v45
	v_add_u32_e32 v29, 2, v29
	v_mov_b32_e32 v32, 0
	s_mov_b64 s[18:19], -1
	s_waitcnt vmcnt(0)
	buffer_store_dword v30, v33, s[0:3], 0 offen
	v_max3_i32 v33, v14, v30, v56
	v_mov_b32_e32 v14, 0x2ef0
	buffer_store_dword v33, v14, s[0:3], 0 offen offset:4
	v_max3_i32 v34, v44, v33, v57
	v_mov_b32_e32 v14, 0x2ef0
	buffer_store_dword v34, v14, s[0:3], 0 offen offset:8
	v_max3_i32 v35, v46, v34, v58
	v_mov_b32_e32 v14, 0x2ef0
	buffer_store_dword v35, v14, s[0:3], 0 offen offset:12
	v_max3_i32 v36, v47, v35, v59
	v_mov_b32_e32 v14, 0x2ef0
	buffer_store_dword v36, v14, s[0:3], 0 offen offset:16
	v_max3_i32 v37, v51, v36, v60
	v_mov_b32_e32 v14, 0x2ef0
	buffer_store_dword v37, v14, s[0:3], 0 offen offset:20
	v_max3_i32 v38, v66, v37, v61
	v_mov_b32_e32 v14, 0x2ef0
	buffer_store_dword v38, v14, s[0:3], 0 offen offset:24
	v_max3_i32 v39, v67, v38, v62
	v_mov_b32_e32 v14, 0x2ef0
	buffer_store_dword v39, v14, s[0:3], 0 offen offset:28
	v_max3_i32 v40, v68, v39, v63
	v_mov_b32_e32 v14, 0x2ef0
	buffer_store_dword v40, v14, s[0:3], 0 offen offset:32
	v_max3_i32 v41, v69, v40, v64
	v_mov_b32_e32 v14, 0x2ef0
	buffer_store_dword v41, v14, s[0:3], 0 offen offset:36
	v_max3_i32 v42, v70, v41, v65
	v_mov_b32_e32 v14, 0x2ef0
	buffer_store_dword v42, v14, s[0:3], 0 offen offset:40
	v_max3_i32 v43, v72, v42, v71
	v_mov_b32_e32 v14, 0x2ef0
	buffer_store_dword v43, v14, s[0:3], 0 offen offset:44
	v_max3_i32 v44, v73, v43, v54
	v_mov_b32_e32 v14, 0x2ef0
	buffer_store_dword v44, v14, s[0:3], 0 offen offset:48
	v_addc_co_u32_e64 v14, s[6:7], 0, v54, s[6:7]
	v_max3_i32 v45, v14, v44, v50
	v_mov_b32_e32 v14, 0x2ef0
	buffer_store_dword v45, v14, s[0:3], 0 offen offset:52
	v_xor_b32_e32 v14, v27, v48
	v_and_b32_e32 v14, 3, v14
	v_cmp_eq_u32_e64 s[6:7], 0, v14
	v_addc_co_u32_e64 v14, s[6:7], 0, v50, s[6:7]
	v_max3_i32 v46, v14, v45, v52
	v_mov_b32_e32 v14, 0x2ef0
	buffer_store_dword v46, v14, s[0:3], 0 offen offset:56
	v_xor_b32_e32 v14, v28, v48
	v_and_b32_e32 v14, 3, v14
	v_cmp_eq_u32_e64 s[6:7], 0, v14
	v_addc_co_u32_e64 v14, s[6:7], 0, v52, s[6:7]
	v_max3_i32 v47, v14, v46, v53
	v_mov_b32_e32 v14, 0x2ef0
	buffer_store_dword v47, v14, s[0:3], 0 offen offset:60
	v_xor_b32_e32 v14, v15, v48
	v_and_b32_e32 v14, 3, v14
	v_cmp_eq_u32_e64 s[6:7], 0, v14
	v_addc_co_u32_e64 v14, s[6:7], 0, v53, s[6:7]
	v_max3_i32 v48, v14, v47, v13
	v_cmp_eq_u32_e64 s[6:7], s17, v29
	buffer_store_short v48, v55, s[0:3], 0 offen offset:4
	s_and_saveexec_b64 s[28:29], s[6:7]
	s_xor_b64 s[6:7], exec, s[28:29]
; %bb.18:                               ;   in Loop: Header=BB13_16 Depth=3
	v_mov_b32_e32 v32, 11
	v_mov_b32_e32 v29, s17
	s_xor_b64 s[18:19], exec, -1
	s_and_b64 s[20:21], vcc, exec
; %bb.19:                               ;   in Loop: Header=BB13_16 Depth=3
	s_or_b64 exec, exec, s[6:7]
	s_and_b64 s[18:19], s[18:19], exec
	s_and_b64 s[20:21], s[20:21], exec
	v_mov_b32_e32 v82, v8
                                        ; implicit-def: $vgpr66
                                        ; implicit-def: $vgpr67
                                        ; implicit-def: $vgpr68
                                        ; implicit-def: $vgpr69
                                        ; implicit-def: $vgpr70
                                        ; implicit-def: $vgpr72
                                        ; implicit-def: $vgpr73
                                        ; implicit-def: $vgpr74
                                        ; implicit-def: $vgpr75
                                        ; implicit-def: $vgpr76
                                        ; implicit-def: $vgpr77
                                        ; implicit-def: $vgpr78
                                        ; implicit-def: $vgpr79
                                        ; implicit-def: $vgpr80
                                        ; implicit-def: $vgpr81
                                        ; implicit-def: $vgpr83
                                        ; implicit-def: $vgpr84
                                        ; implicit-def: $vgpr51
.LBB13_20:                              ;   in Loop: Header=BB13_16 Depth=3
	s_or_saveexec_b64 s[6:7], s[22:23]
	v_mov_b32_e32 v50, v48
	v_mov_b32_e32 v14, v48
	;; [unrolled: 1-line block ×17, first 2 shown]
	s_xor_b64 exec, exec, s[6:7]
	s_cbranch_execz .LBB13_22
; %bb.21:                               ;   in Loop: Header=BB13_16 Depth=3
	s_andn2_b64 s[20:21], s[20:21], exec
	s_and_b64 s[22:23], vcc, exec
	v_mov_b32_e32 v32, 11
	v_mov_b32_e32 v29, s17
	s_andn2_b64 s[18:19], s[18:19], exec
	s_or_b64 s[20:21], s[20:21], s[22:23]
	v_mov_b32_e32 v49, v51
	v_mov_b32_e32 v50, v84
	;; [unrolled: 1-line block ×19, first 2 shown]
	s_or_b64 exec, exec, s[6:7]
	s_and_saveexec_b64 s[22:23], s[20:21]
	s_cbranch_execz .LBB13_24
	s_branch .LBB13_23
.LBB13_22:                              ;   in Loop: Header=BB13_16 Depth=3
	s_or_b64 exec, exec, s[6:7]
	s_and_saveexec_b64 s[22:23], s[20:21]
	s_cbranch_execz .LBB13_24
.LBB13_23:                              ;   in Loop: Header=BB13_16 Depth=3
	buffer_load_dword v51, v82, s[0:3], 0 offen
	v_mov_b32_e32 v66, s16
	v_mov_b32_e32 v29, s17
	;; [unrolled: 1-line block ×3, first 2 shown]
	s_andn2_b64 s[18:19], s[18:19], exec
	s_waitcnt vmcnt(0)
	v_cmp_ge_i32_e64 s[6:7], v51, v5
	v_cndmask_b32_e64 v51, -1, v66, s[6:7]
	global_store_dword v[0:1], v51, off
.LBB13_24:                              ;   in Loop: Header=BB13_16 Depth=3
	s_or_b64 exec, exec, s[22:23]
	s_mov_b64 s[6:7], -1
                                        ; implicit-def: $vgpr51
	s_and_saveexec_b64 s[20:21], s[18:19]
	s_cbranch_execz .LBB13_15
; %bb.25:                               ;   in Loop: Header=BB13_16 Depth=3
	v_cmp_gt_i32_e64 s[6:7], 2, v49
	v_add_u32_e32 v51, -2, v49
	v_mov_b32_e32 v32, 11
	s_orn2_b64 s[6:7], s[6:7], exec
	s_branch .LBB13_15
.LBB13_26:                              ;   in Loop: Header=BB13_14 Depth=2
	s_or_b64 exec, exec, s[14:15]
	v_cmp_eq_u32_e64 s[6:7], 11, v32
	s_mov_b64 s[14:15], -1
	s_and_saveexec_b64 s[18:19], s[6:7]
	s_cbranch_execz .LBB13_13
; %bb.27:                               ;   in Loop: Header=BB13_14 Depth=2
	s_add_i32 s20, s24, 1
	s_cmp_eq_u32 s24, s27
	s_cselect_b64 s[6:7], -1, 0
	v_mov_b32_e32 v32, 8
	s_orn2_b64 s[14:15], s[6:7], exec
	s_mov_b32 s24, s20
	s_branch .LBB13_13
.LBB13_28:                              ;   in Loop: Header=BB13_11 Depth=1
	v_mov_b32_e32 v32, 8
	v_mov_b32_e32 v14, 0
	v_cmp_eq_u32_e32 vcc, 8, v32
	s_and_saveexec_b64 s[10:11], vcc
	s_cbranch_execz .LBB13_10
	s_branch .LBB13_30
.LBB13_29:                              ;   in Loop: Header=BB13_11 Depth=1
	s_or_b64 exec, exec, s[10:11]
	v_cmp_eq_u32_e32 vcc, 8, v32
	s_and_saveexec_b64 s[10:11], vcc
	s_cbranch_execz .LBB13_10
.LBB13_30:                              ;   in Loop: Header=BB13_11 Depth=1
	v_mov_b32_e32 v13, 0x2ef0
	buffer_store_dword v4, v13, s[0:3], 0 offen offset:4
	v_mov_b32_e32 v13, 0x2ef0
	buffer_store_dword v4, v13, s[0:3], 0 offen
	v_mov_b32_e32 v13, 0x2ef0
	buffer_store_dword v4, v13, s[0:3], 0 offen offset:84
	v_mov_b32_e32 v13, 0x2ef0
	buffer_store_dword v4, v13, s[0:3], 0 offen offset:80
	;; [unrolled: 2-line block ×30, first 2 shown]
	v_add_u32_e32 v12, 1, v12
	s_mov_b32 s28, 0
	s_and_b64 vcc, exec, s[4:5]
	v_mov_b32_e32 v40, 23
	v_mov_b32_e32 v14, 0
	;; [unrolled: 1-line block ×3, first 2 shown]
	s_cbranch_vccnz .LBB13_9
; %bb.31:                               ;   in Loop: Header=BB13_11 Depth=1
	global_load_dword v2, v[2:3], off offset:4
	v_cmp_eq_u32_e32 vcc, v12, v6
	s_mov_b64 s[14:15], 0
	v_mov_b32_e32 v69, 0
	v_mov_b32_e32 v64, 0
	;; [unrolled: 1-line block ×19, first 2 shown]
	s_waitcnt vmcnt(0)
	v_lshrrev_b32_e32 v3, 30, v2
	v_lshrrev_b32_e32 v15, 28, v2
	;; [unrolled: 1-line block ×13, first 2 shown]
	s_branch .LBB13_33
.LBB13_32:                              ;   in Loop: Header=BB13_33 Depth=2
	s_or_b64 exec, exec, s[20:21]
	s_and_b64 s[6:7], exec, s[18:19]
	s_or_b64 s[14:15], s[6:7], s[14:15]
	s_andn2_b64 exec, exec, s[14:15]
	s_cbranch_execz .LBB13_8
.LBB13_33:                              ;   Parent Loop BB13_11 Depth=1
                                        ; =>  This Loop Header: Depth=2
                                        ;       Child Loop BB13_35 Depth 3
	s_add_i32 s6, s28, s26
	s_ashr_i32 s7, s6, 31
	s_lshl_b64 s[6:7], s[6:7], 2
	s_add_u32 s6, s12, s6
	s_addc_u32 s7, s13, s7
	global_load_dword v28, v4, s[6:7]
	v_mov_b32_e32 v49, 30
	s_mov_b64 s[18:19], 0
	v_mov_b32_e32 v65, v69
	v_mov_b32_e32 v66, v64
	;; [unrolled: 1-line block ×35, first 2 shown]
	s_branch .LBB13_35
.LBB13_34:                              ;   in Loop: Header=BB13_35 Depth=3
	s_or_b64 exec, exec, s[22:23]
	s_and_b64 s[6:7], exec, s[6:7]
	s_or_b64 s[18:19], s[6:7], s[18:19]
	v_mov_b32_e32 v65, v69
	v_mov_b32_e32 v66, v64
	;; [unrolled: 1-line block ×18, first 2 shown]
	s_andn2_b64 exec, exec, s[18:19]
	s_cbranch_execz .LBB13_45
.LBB13_35:                              ;   Parent Loop BB13_11 Depth=1
                                        ;     Parent Loop BB13_33 Depth=2
                                        ; =>    This Inner Loop Header: Depth=3
	v_lshlrev_b32_e32 v40, 1, v27
	v_add_u32_e32 v69, 16, v40
	buffer_load_sshort v14, v69, s[0:3], 0 offen offset:2
	s_waitcnt vmcnt(1)
	v_lshrrev_b32_e32 v13, v49, v28
	v_bfe_u32 v48, v28, v49, 2
	v_cmp_eq_u32_e64 s[6:7], v3, v48
	v_xor_b32_e32 v50, v15, v13
	v_addc_co_u32_e64 v48, s[6:7], 0, v29, s[6:7]
	v_and_b32_e32 v50, 3, v50
	v_xor_b32_e32 v51, v16, v13
	v_cmp_eq_u32_e64 s[6:7], 0, v50
	v_and_b32_e32 v51, 3, v51
	v_addc_co_u32_e64 v50, s[6:7], 0, v30, s[6:7]
	v_xor_b32_sdwa v52, v2, v13 dst_sel:DWORD dst_unused:UNUSED_PAD src0_sel:BYTE_3 src1_sel:DWORD
	v_cmp_eq_u32_e64 s[6:7], 0, v51
	v_and_b32_e32 v52, 3, v52
	v_addc_co_u32_e64 v51, s[6:7], 0, v31, s[6:7]
	v_xor_b32_e32 v53, v17, v13
	v_cmp_eq_u32_e64 s[6:7], 0, v52
	v_and_b32_e32 v53, 3, v53
	v_addc_co_u32_e64 v52, s[6:7], 0, v32, s[6:7]
	v_xor_b32_e32 v54, v18, v13
	;; [unrolled: 4-line block ×3, first 2 shown]
	v_cmp_eq_u32_e64 s[6:7], 0, v54
	v_and_b32_e32 v55, 3, v55
	v_addc_co_u32_e64 v62, s[6:7], 0, v34, s[6:7]
	v_xor_b32_sdwa v56, v2, v13 dst_sel:DWORD dst_unused:UNUSED_PAD src0_sel:WORD_1 src1_sel:DWORD
	v_cmp_eq_u32_e64 s[6:7], 0, v55
	v_and_b32_e32 v56, 3, v56
	v_addc_co_u32_e64 v63, s[6:7], 0, v35, s[6:7]
	v_xor_b32_e32 v57, v20, v13
	v_cmp_eq_u32_e64 s[6:7], 0, v56
	v_and_b32_e32 v57, 3, v57
	v_addc_co_u32_e64 v64, s[6:7], 0, v36, s[6:7]
	v_xor_b32_e32 v58, v21, v13
	v_cmp_eq_u32_e64 s[6:7], 0, v57
	v_mov_b32_e32 v54, 0x2ef0
	v_and_b32_e32 v58, 3, v58
	v_addc_co_u32_e64 v82, s[6:7], 0, v37, s[6:7]
	v_xor_b32_e32 v59, v22, v13
	v_cmp_eq_u32_e64 s[6:7], 0, v58
	v_and_b32_e32 v59, 3, v59
	v_addc_co_u32_e64 v85, s[6:7], 0, v38, s[6:7]
	v_xor_b32_e32 v60, v23, v13
	v_cmp_eq_u32_e64 s[6:7], 0, v59
	v_and_b32_e32 v60, 3, v60
	v_addc_co_u32_e64 v86, s[6:7], 0, v39, s[6:7]
	v_xor_b32_e32 v61, v24, v13
	v_cmp_eq_u32_e64 s[6:7], 0, v60
	v_and_b32_e32 v61, 3, v61
	v_addc_co_u32_e64 v87, s[6:7], 0, v41, s[6:7]
	v_cmp_eq_u32_e64 s[6:7], 0, v61
	v_addc_co_u32_e64 v88, s[6:7], 0, v42, s[6:7]
	v_add_u32_e32 v47, 1, v27
	s_mov_b64 s[22:23], 0
                                        ; implicit-def: $sgpr20_sgpr21
	s_waitcnt vmcnt(0)
	buffer_store_dword v14, v54, s[0:3], 0 offen offset:80
	v_max3_i32 v54, v48, v14, v30
	v_mov_b32_e32 v48, 0x2ef0
	buffer_store_dword v54, v48, s[0:3], 0 offen offset:84
	v_max3_i32 v55, v50, v54, v31
	v_mov_b32_e32 v48, 0x2ef0
	;; [unrolled: 3-line block ×13, first 2 shown]
	buffer_store_dword v48, v50, s[0:3], 0 offen offset:132
	v_xor_b32_e32 v50, v25, v13
	v_and_b32_e32 v50, 3, v50
	v_cmp_eq_u32_e64 s[6:7], 0, v50
	v_addc_co_u32_e64 v50, s[6:7], 0, v43, s[6:7]
	v_max3_i32 v50, v50, v48, v44
	v_mov_b32_e32 v51, 0x2ef0
	buffer_store_dword v50, v51, s[0:3], 0 offen offset:136
	v_xor_b32_e32 v51, v26, v13
	v_and_b32_e32 v51, 3, v51
	v_cmp_eq_u32_e64 s[6:7], 0, v51
	v_xor_b32_e32 v13, v2, v13
	v_addc_co_u32_e64 v51, s[6:7], 0, v44, s[6:7]
	v_and_b32_e32 v13, 3, v13
	v_cmp_eq_u32_e64 s[6:7], 0, v13
	v_max3_i32 v51, v51, v50, v45
	v_mov_b32_e32 v53, 0x2ef0
	v_addc_co_u32_e64 v13, s[6:7], 0, v45, s[6:7]
	buffer_store_dword v51, v53, s[0:3], 0 offen offset:140
	v_max3_i32 v13, v13, v51, v46
	v_add_u32_e32 v53, 0x1780, v40
	v_cmp_ne_u32_e64 s[6:7], s17, v47
	buffer_store_short v13, v53, s[0:3], 0 offen offset:2
                                        ; implicit-def: $vgpr47
                                        ; implicit-def: $vgpr82
                                        ; implicit-def: $vgpr40
	s_and_saveexec_b64 s[24:25], s[6:7]
	s_xor_b64 s[24:25], exec, s[24:25]
	s_cbranch_execz .LBB13_39
; %bb.36:                               ;   in Loop: Header=BB13_35 Depth=3
	buffer_load_sshort v29, v69, s[0:3], 0 offen offset:4
	v_add_u32_e32 v47, -2, v49
	v_lshrrev_b32_e32 v46, v47, v28
	v_bfe_u32 v30, v28, v47, 2
	v_cmp_eq_u32_e64 s[6:7], v3, v30
	v_xor_b32_e32 v30, v15, v46
	v_addc_co_u32_e64 v14, s[6:7], 0, v14, s[6:7]
	v_and_b32_e32 v30, 3, v30
	v_xor_b32_e32 v31, v16, v46
	v_xor_b32_e32 v42, v24, v46
	v_cmp_eq_u32_e64 s[6:7], 0, v30
	v_and_b32_e32 v31, 3, v31
	v_and_b32_e32 v43, 3, v42
	v_addc_co_u32_e64 v42, s[6:7], 0, v54, s[6:7]
	v_xor_b32_sdwa v32, v2, v46 dst_sel:DWORD dst_unused:UNUSED_PAD src0_sel:BYTE_3 src1_sel:DWORD
	v_cmp_eq_u32_e64 s[6:7], 0, v31
	v_and_b32_e32 v32, 3, v32
	v_addc_co_u32_e64 v44, s[6:7], 0, v55, s[6:7]
	v_xor_b32_e32 v33, v17, v46
	v_cmp_eq_u32_e64 s[6:7], 0, v32
	v_and_b32_e32 v33, 3, v33
	v_addc_co_u32_e64 v45, s[6:7], 0, v56, s[6:7]
	v_xor_b32_e32 v34, v18, v46
	;; [unrolled: 4-line block ×3, first 2 shown]
	v_cmp_eq_u32_e64 s[6:7], 0, v34
	v_and_b32_e32 v35, 3, v35
	v_addc_co_u32_e64 v65, s[6:7], 0, v58, s[6:7]
	v_xor_b32_sdwa v36, v2, v46 dst_sel:DWORD dst_unused:UNUSED_PAD src0_sel:WORD_1 src1_sel:DWORD
	v_cmp_eq_u32_e64 s[6:7], 0, v35
	v_mov_b32_e32 v30, 0x2ef0
	v_and_b32_e32 v36, 3, v36
	v_addc_co_u32_e64 v66, s[6:7], 0, v59, s[6:7]
	v_xor_b32_e32 v37, v20, v46
	v_cmp_eq_u32_e64 s[6:7], 0, v36
	v_and_b32_e32 v37, 3, v37
	v_addc_co_u32_e64 v67, s[6:7], 0, v60, s[6:7]
	v_xor_b32_e32 v38, v21, v46
	v_cmp_eq_u32_e64 s[6:7], 0, v37
	;; [unrolled: 4-line block ×4, first 2 shown]
	v_and_b32_e32 v41, 3, v41
	v_addc_co_u32_e64 v70, s[6:7], 0, v63, s[6:7]
	v_cmp_eq_u32_e64 s[6:7], 0, v41
	v_addc_co_u32_e64 v71, s[6:7], 0, v64, s[6:7]
	v_cmp_eq_u32_e64 s[6:7], 0, v43
	v_add_u32_e32 v27, 2, v27
	v_mov_b32_e32 v40, 0
	s_mov_b64 s[20:21], -1
	s_waitcnt vmcnt(0)
	buffer_store_dword v29, v30, s[0:3], 0 offen
	v_max3_i32 v30, v14, v29, v54
	v_mov_b32_e32 v14, 0x2ef0
	buffer_store_dword v30, v14, s[0:3], 0 offen offset:4
	v_max3_i32 v31, v42, v30, v55
	v_mov_b32_e32 v14, 0x2ef0
	buffer_store_dword v31, v14, s[0:3], 0 offen offset:8
	v_max3_i32 v32, v44, v31, v56
	v_mov_b32_e32 v14, 0x2ef0
	buffer_store_dword v32, v14, s[0:3], 0 offen offset:12
	v_max3_i32 v33, v45, v32, v57
	v_mov_b32_e32 v14, 0x2ef0
	buffer_store_dword v33, v14, s[0:3], 0 offen offset:16
	v_max3_i32 v34, v49, v33, v58
	v_mov_b32_e32 v14, 0x2ef0
	buffer_store_dword v34, v14, s[0:3], 0 offen offset:20
	v_max3_i32 v35, v65, v34, v59
	v_mov_b32_e32 v14, 0x2ef0
	buffer_store_dword v35, v14, s[0:3], 0 offen offset:24
	v_max3_i32 v36, v66, v35, v60
	v_mov_b32_e32 v14, 0x2ef0
	buffer_store_dword v36, v14, s[0:3], 0 offen offset:28
	v_max3_i32 v37, v67, v36, v61
	v_mov_b32_e32 v14, 0x2ef0
	buffer_store_dword v37, v14, s[0:3], 0 offen offset:32
	v_max3_i32 v38, v68, v37, v62
	v_mov_b32_e32 v14, 0x2ef0
	buffer_store_dword v38, v14, s[0:3], 0 offen offset:36
	v_max3_i32 v39, v69, v38, v63
	v_mov_b32_e32 v14, 0x2ef0
	buffer_store_dword v39, v14, s[0:3], 0 offen offset:40
	v_max3_i32 v41, v70, v39, v64
	v_mov_b32_e32 v14, 0x2ef0
	buffer_store_dword v41, v14, s[0:3], 0 offen offset:44
	v_max3_i32 v42, v71, v41, v52
	v_mov_b32_e32 v14, 0x2ef0
	buffer_store_dword v42, v14, s[0:3], 0 offen offset:48
	v_addc_co_u32_e64 v14, s[6:7], 0, v52, s[6:7]
	v_max3_i32 v43, v14, v42, v48
	v_mov_b32_e32 v14, 0x2ef0
	buffer_store_dword v43, v14, s[0:3], 0 offen offset:52
	v_xor_b32_e32 v14, v25, v46
	v_and_b32_e32 v14, 3, v14
	v_cmp_eq_u32_e64 s[6:7], 0, v14
	v_addc_co_u32_e64 v14, s[6:7], 0, v48, s[6:7]
	v_max3_i32 v44, v14, v43, v50
	v_mov_b32_e32 v14, 0x2ef0
	buffer_store_dword v44, v14, s[0:3], 0 offen offset:56
	v_xor_b32_e32 v14, v26, v46
	v_and_b32_e32 v14, 3, v14
	v_cmp_eq_u32_e64 s[6:7], 0, v14
	;; [unrolled: 7-line block ×3, first 2 shown]
	v_addc_co_u32_e64 v14, s[6:7], 0, v51, s[6:7]
	v_max3_i32 v46, v14, v45, v13
	v_cmp_eq_u32_e64 s[6:7], s17, v27
	buffer_store_short v46, v53, s[0:3], 0 offen offset:4
	s_and_saveexec_b64 s[30:31], s[6:7]
	s_xor_b64 s[6:7], exec, s[30:31]
; %bb.37:                               ;   in Loop: Header=BB13_35 Depth=3
	v_mov_b32_e32 v40, 26
	v_mov_b32_e32 v27, s17
	s_xor_b64 s[20:21], exec, -1
	s_and_b64 s[22:23], vcc, exec
; %bb.38:                               ;   in Loop: Header=BB13_35 Depth=3
	s_or_b64 exec, exec, s[6:7]
	s_and_b64 s[20:21], s[20:21], exec
	s_and_b64 s[22:23], s[22:23], exec
	v_mov_b32_e32 v82, v8
                                        ; implicit-def: $vgpr65
                                        ; implicit-def: $vgpr66
                                        ; implicit-def: $vgpr67
                                        ; implicit-def: $vgpr68
                                        ; implicit-def: $vgpr70
                                        ; implicit-def: $vgpr71
                                        ; implicit-def: $vgpr72
                                        ; implicit-def: $vgpr73
                                        ; implicit-def: $vgpr74
                                        ; implicit-def: $vgpr75
                                        ; implicit-def: $vgpr76
                                        ; implicit-def: $vgpr77
                                        ; implicit-def: $vgpr78
                                        ; implicit-def: $vgpr79
                                        ; implicit-def: $vgpr80
                                        ; implicit-def: $vgpr81
                                        ; implicit-def: $vgpr83
                                        ; implicit-def: $vgpr84
                                        ; implicit-def: $vgpr49
.LBB13_39:                              ;   in Loop: Header=BB13_35 Depth=3
	s_or_saveexec_b64 s[6:7], s[24:25]
	v_mov_b32_e32 v48, v46
	v_mov_b32_e32 v14, v46
	;; [unrolled: 1-line block ×18, first 2 shown]
	s_xor_b64 exec, exec, s[6:7]
	s_cbranch_execz .LBB13_41
; %bb.40:                               ;   in Loop: Header=BB13_35 Depth=3
	s_andn2_b64 s[22:23], s[22:23], exec
	s_and_b64 s[24:25], vcc, exec
	v_mov_b32_e32 v40, 26
	v_mov_b32_e32 v27, s17
	s_andn2_b64 s[20:21], s[20:21], exec
	s_or_b64 s[22:23], s[22:23], s[24:25]
	v_mov_b32_e32 v47, v49
	v_mov_b32_e32 v48, v84
	;; [unrolled: 1-line block ×20, first 2 shown]
	s_or_b64 exec, exec, s[6:7]
	s_and_saveexec_b64 s[24:25], s[22:23]
	s_cbranch_execz .LBB13_43
	s_branch .LBB13_42
.LBB13_41:                              ;   in Loop: Header=BB13_35 Depth=3
	s_or_b64 exec, exec, s[6:7]
	s_and_saveexec_b64 s[24:25], s[22:23]
	s_cbranch_execz .LBB13_43
.LBB13_42:                              ;   in Loop: Header=BB13_35 Depth=3
	buffer_load_dword v49, v82, s[0:3], 0 offen
	v_mov_b32_e32 v65, s16
	v_mov_b32_e32 v27, s17
	;; [unrolled: 1-line block ×3, first 2 shown]
	s_andn2_b64 s[20:21], s[20:21], exec
	s_waitcnt vmcnt(0)
	v_cmp_ge_i32_e64 s[6:7], v49, v5
	v_cndmask_b32_e64 v49, -1, v65, s[6:7]
	global_store_dword v[0:1], v49, off
.LBB13_43:                              ;   in Loop: Header=BB13_35 Depth=3
	s_or_b64 exec, exec, s[24:25]
	s_mov_b64 s[6:7], -1
                                        ; implicit-def: $vgpr49
	s_and_saveexec_b64 s[22:23], s[20:21]
	s_cbranch_execz .LBB13_34
; %bb.44:                               ;   in Loop: Header=BB13_35 Depth=3
	v_cmp_gt_i32_e64 s[6:7], 2, v47
	v_add_u32_e32 v49, -2, v47
	v_mov_b32_e32 v40, 26
	s_orn2_b64 s[6:7], s[6:7], exec
	s_branch .LBB13_34
.LBB13_45:                              ;   in Loop: Header=BB13_33 Depth=2
	s_or_b64 exec, exec, s[18:19]
	v_cmp_eq_u32_e64 s[6:7], 26, v40
	s_mov_b64 s[18:19], -1
	s_and_saveexec_b64 s[20:21], s[6:7]
	s_cbranch_execz .LBB13_32
; %bb.46:                               ;   in Loop: Header=BB13_33 Depth=2
	s_add_i32 s22, s28, 1
	s_cmp_eq_u32 s28, s27
	s_cselect_b64 s[6:7], -1, 0
	v_mov_b32_e32 v40, 23
	s_orn2_b64 s[18:19], s[6:7], exec
	s_mov_b32 s28, s22
	s_branch .LBB13_32
.LBB13_47:
	s_or_b64 exec, exec, s[8:9]
	v_mov_b32_e32 v0, 0x2ef0
	buffer_store_dword v13, v0, s[0:3], 0 offen offset:144
	v_mov_b32_e32 v0, 0x2ef0
	buffer_store_dword v14, v0, s[0:3], 0 offen offset:64
.LBB13_48:
	s_endpgm
	.section	.rodata,"a",@progbits
	.p2align	6, 0x0
	.amdhsa_kernel _Z12kernel_alignfPKiPKlPKjS0_iPii
		.amdhsa_group_segment_fixed_size 0
		.amdhsa_private_segment_fixed_size 12176
		.amdhsa_kernarg_size 320
		.amdhsa_user_sgpr_count 8
		.amdhsa_user_sgpr_private_segment_buffer 1
		.amdhsa_user_sgpr_dispatch_ptr 0
		.amdhsa_user_sgpr_queue_ptr 0
		.amdhsa_user_sgpr_kernarg_segment_ptr 1
		.amdhsa_user_sgpr_dispatch_id 0
		.amdhsa_user_sgpr_flat_scratch_init 1
		.amdhsa_user_sgpr_kernarg_preload_length 0
		.amdhsa_user_sgpr_kernarg_preload_offset 0
		.amdhsa_user_sgpr_private_segment_size 0
		.amdhsa_uses_dynamic_stack 0
		.amdhsa_system_sgpr_private_segment_wavefront_offset 1
		.amdhsa_system_sgpr_workgroup_id_x 1
		.amdhsa_system_sgpr_workgroup_id_y 0
		.amdhsa_system_sgpr_workgroup_id_z 0
		.amdhsa_system_sgpr_workgroup_info 0
		.amdhsa_system_vgpr_workitem_id 0
		.amdhsa_next_free_vgpr 90
		.amdhsa_next_free_sgpr 32
		.amdhsa_accum_offset 92
		.amdhsa_reserve_vcc 1
		.amdhsa_reserve_flat_scratch 0
		.amdhsa_float_round_mode_32 0
		.amdhsa_float_round_mode_16_64 0
		.amdhsa_float_denorm_mode_32 3
		.amdhsa_float_denorm_mode_16_64 3
		.amdhsa_dx10_clamp 1
		.amdhsa_ieee_mode 1
		.amdhsa_fp16_overflow 0
		.amdhsa_tg_split 0
		.amdhsa_exception_fp_ieee_invalid_op 0
		.amdhsa_exception_fp_denorm_src 0
		.amdhsa_exception_fp_ieee_div_zero 0
		.amdhsa_exception_fp_ieee_overflow 0
		.amdhsa_exception_fp_ieee_underflow 0
		.amdhsa_exception_fp_ieee_inexact 0
		.amdhsa_exception_int_div_zero 0
	.end_amdhsa_kernel
	.text
.Lfunc_end13:
	.size	_Z12kernel_alignfPKiPKlPKjS0_iPii, .Lfunc_end13-_Z12kernel_alignfPKiPKlPKjS0_iPii
                                        ; -- End function
	.section	.AMDGPU.csdata,"",@progbits
; Kernel info:
; codeLenInByte = 6940
; NumSgprs: 36
; NumVgprs: 90
; NumAgprs: 0
; TotalNumVgprs: 90
; ScratchSize: 12176
; MemoryBound: 0
; FloatMode: 240
; IeeeMode: 1
; LDSByteSize: 0 bytes/workgroup (compile time only)
; SGPRBlocks: 4
; VGPRBlocks: 11
; NumSGPRsForWavesPerEU: 36
; NumVGPRsForWavesPerEU: 90
; AccumOffset: 92
; Occupancy: 5
; WaveLimiterHint : 1
; COMPUTE_PGM_RSRC2:SCRATCH_EN: 1
; COMPUTE_PGM_RSRC2:USER_SGPR: 8
; COMPUTE_PGM_RSRC2:TRAP_HANDLER: 0
; COMPUTE_PGM_RSRC2:TGID_X_EN: 1
; COMPUTE_PGM_RSRC2:TGID_Y_EN: 0
; COMPUTE_PGM_RSRC2:TGID_Z_EN: 0
; COMPUTE_PGM_RSRC2:TIDIG_COMP_CNT: 0
; COMPUTE_PGM_RSRC3_GFX90A:ACCUM_OFFSET: 22
; COMPUTE_PGM_RSRC3_GFX90A:TG_SPLIT: 0
	.text
	.p2alignl 6, 3212836864
	.fill 256, 4, 3212836864
	.type	__hip_cuid_e6dfc861e5f77584,@object ; @__hip_cuid_e6dfc861e5f77584
	.section	.bss,"aw",@nobits
	.globl	__hip_cuid_e6dfc861e5f77584
__hip_cuid_e6dfc861e5f77584:
	.byte	0                               ; 0x0
	.size	__hip_cuid_e6dfc861e5f77584, 1

	.ident	"AMD clang version 19.0.0git (https://github.com/RadeonOpenCompute/llvm-project roc-6.4.0 25133 c7fe45cf4b819c5991fe208aaa96edf142730f1d)"
	.section	".note.GNU-stack","",@progbits
	.addrsig
	.addrsig_sym __hip_cuid_e6dfc861e5f77584
	.amdgpu_metadata
---
amdhsa.kernels:
  - .agpr_count:     0
    .args:
      - .address_space:  global
        .offset:         0
        .size:           8
        .value_kind:     global_buffer
      - .offset:         8
        .size:           8
        .value_kind:     by_value
      - .offset:         16
        .size:           4
        .value_kind:     hidden_block_count_x
      - .offset:         20
        .size:           4
        .value_kind:     hidden_block_count_y
      - .offset:         24
        .size:           4
        .value_kind:     hidden_block_count_z
      - .offset:         28
        .size:           2
        .value_kind:     hidden_group_size_x
      - .offset:         30
        .size:           2
        .value_kind:     hidden_group_size_y
      - .offset:         32
        .size:           2
        .value_kind:     hidden_group_size_z
      - .offset:         34
        .size:           2
        .value_kind:     hidden_remainder_x
      - .offset:         36
        .size:           2
        .value_kind:     hidden_remainder_y
      - .offset:         38
        .size:           2
        .value_kind:     hidden_remainder_z
      - .offset:         56
        .size:           8
        .value_kind:     hidden_global_offset_x
      - .offset:         64
        .size:           8
        .value_kind:     hidden_global_offset_y
      - .offset:         72
        .size:           8
        .value_kind:     hidden_global_offset_z
      - .offset:         80
        .size:           2
        .value_kind:     hidden_grid_dims
    .group_segment_fixed_size: 0
    .kernarg_segment_align: 8
    .kernarg_segment_size: 272
    .language:       OpenCL C
    .language_version:
      - 2
      - 0
    .max_flat_workgroup_size: 1024
    .name:           _Z19kernel_baseToNumberPcl
    .private_segment_fixed_size: 0
    .sgpr_count:     42
    .sgpr_spill_count: 0
    .symbol:         _Z19kernel_baseToNumberPcl.kd
    .uniform_work_group_size: 1
    .uses_dynamic_stack: false
    .vgpr_count:     7
    .vgpr_spill_count: 0
    .wavefront_size: 64
  - .agpr_count:     0
    .args:
      - .address_space:  global
        .offset:         0
        .size:           8
        .value_kind:     global_buffer
      - .address_space:  global
        .offset:         8
        .size:           8
        .value_kind:     global_buffer
      - .address_space:  global
        .offset:         16
        .size:           8
        .value_kind:     global_buffer
      - .address_space:  global
        .offset:         24
        .size:           8
        .value_kind:     global_buffer
      - .address_space:  global
        .offset:         32
        .size:           8
        .value_kind:     global_buffer
      - .offset:         40
        .size:           4
        .value_kind:     by_value
      - .offset:         48
        .size:           4
        .value_kind:     hidden_block_count_x
      - .offset:         52
        .size:           4
        .value_kind:     hidden_block_count_y
      - .offset:         56
        .size:           4
        .value_kind:     hidden_block_count_z
      - .offset:         60
        .size:           2
        .value_kind:     hidden_group_size_x
      - .offset:         62
        .size:           2
        .value_kind:     hidden_group_size_y
      - .offset:         64
        .size:           2
        .value_kind:     hidden_group_size_z
      - .offset:         66
        .size:           2
        .value_kind:     hidden_remainder_x
      - .offset:         68
        .size:           2
        .value_kind:     hidden_remainder_y
      - .offset:         70
        .size:           2
        .value_kind:     hidden_remainder_z
      - .offset:         88
        .size:           8
        .value_kind:     hidden_global_offset_x
      - .offset:         96
        .size:           8
        .value_kind:     hidden_global_offset_y
      - .offset:         104
        .size:           8
        .value_kind:     hidden_global_offset_z
      - .offset:         112
        .size:           2
        .value_kind:     hidden_grid_dims
    .group_segment_fixed_size: 0
    .kernarg_segment_align: 8
    .kernarg_segment_size: 304
    .language:       OpenCL C
    .language_version:
      - 2
      - 0
    .max_flat_workgroup_size: 1024
    .name:           _Z19kernel_compressDataPKiPKlPKcPjPii
    .private_segment_fixed_size: 0
    .sgpr_count:     20
    .sgpr_spill_count: 0
    .symbol:         _Z19kernel_compressDataPKiPKlPKcPjPii.kd
    .uniform_work_group_size: 1
    .uses_dynamic_stack: false
    .vgpr_count:     14
    .vgpr_spill_count: 0
    .wavefront_size: 64
  - .agpr_count:     0
    .args:
      - .address_space:  global
        .offset:         0
        .size:           8
        .value_kind:     global_buffer
      - .address_space:  global
        .offset:         8
        .size:           8
        .value_kind:     global_buffer
      - .address_space:  global
        .offset:         16
        .size:           8
        .value_kind:     global_buffer
      - .address_space:  global
        .offset:         24
        .size:           8
        .value_kind:     global_buffer
      - .address_space:  global
        .offset:         32
        .size:           8
        .value_kind:     global_buffer
      - .address_space:  global
        .offset:         40
        .size:           8
        .value_kind:     global_buffer
      - .address_space:  global
        .offset:         48
        .size:           8
        .value_kind:     global_buffer
      - .offset:         56
        .size:           4
        .value_kind:     by_value
      - .offset:         64
        .size:           4
        .value_kind:     hidden_block_count_x
      - .offset:         68
        .size:           4
        .value_kind:     hidden_block_count_y
      - .offset:         72
        .size:           4
        .value_kind:     hidden_block_count_z
      - .offset:         76
        .size:           2
        .value_kind:     hidden_group_size_x
      - .offset:         78
        .size:           2
        .value_kind:     hidden_group_size_y
      - .offset:         80
        .size:           2
        .value_kind:     hidden_group_size_z
      - .offset:         82
        .size:           2
        .value_kind:     hidden_remainder_x
      - .offset:         84
        .size:           2
        .value_kind:     hidden_remainder_y
      - .offset:         86
        .size:           2
        .value_kind:     hidden_remainder_z
      - .offset:         104
        .size:           8
        .value_kind:     hidden_global_offset_x
      - .offset:         112
        .size:           8
        .value_kind:     hidden_global_offset_y
      - .offset:         120
        .size:           8
        .value_kind:     hidden_global_offset_z
      - .offset:         128
        .size:           2
        .value_kind:     hidden_grid_dims
    .group_segment_fixed_size: 0
    .kernarg_segment_align: 8
    .kernarg_segment_size: 320
    .language:       OpenCL C
    .language_version:
      - 2
      - 0
    .max_flat_workgroup_size: 1024
    .name:           _Z19kernel_createIndex4PKcPKiPKlPtS5_PlPii
    .private_segment_fixed_size: 0
    .sgpr_count:     20
    .sgpr_spill_count: 0
    .symbol:         _Z19kernel_createIndex4PKcPKiPKlPtS5_PlPii.kd
    .uniform_work_group_size: 1
    .uses_dynamic_stack: false
    .vgpr_count:     23
    .vgpr_spill_count: 0
    .wavefront_size: 64
  - .agpr_count:     0
    .args:
      - .address_space:  global
        .offset:         0
        .size:           8
        .value_kind:     global_buffer
      - .address_space:  global
        .offset:         8
        .size:           8
        .value_kind:     global_buffer
      - .address_space:  global
        .offset:         16
        .size:           8
        .value_kind:     global_buffer
      - .address_space:  global
        .offset:         24
        .size:           8
        .value_kind:     global_buffer
      - .address_space:  global
        .offset:         32
        .size:           8
        .value_kind:     global_buffer
      - .address_space:  global
        .offset:         40
        .size:           8
        .value_kind:     global_buffer
      - .address_space:  global
        .offset:         48
        .size:           8
        .value_kind:     global_buffer
      - .offset:         56
        .size:           4
        .value_kind:     by_value
      - .offset:         64
        .size:           4
        .value_kind:     hidden_block_count_x
      - .offset:         68
        .size:           4
        .value_kind:     hidden_block_count_y
      - .offset:         72
        .size:           4
        .value_kind:     hidden_block_count_z
      - .offset:         76
        .size:           2
        .value_kind:     hidden_group_size_x
      - .offset:         78
        .size:           2
        .value_kind:     hidden_group_size_y
      - .offset:         80
        .size:           2
        .value_kind:     hidden_group_size_z
      - .offset:         82
        .size:           2
        .value_kind:     hidden_remainder_x
      - .offset:         84
        .size:           2
        .value_kind:     hidden_remainder_y
      - .offset:         86
        .size:           2
        .value_kind:     hidden_remainder_z
      - .offset:         104
        .size:           8
        .value_kind:     hidden_global_offset_x
      - .offset:         112
        .size:           8
        .value_kind:     hidden_global_offset_y
      - .offset:         120
        .size:           8
        .value_kind:     hidden_global_offset_z
      - .offset:         128
        .size:           2
        .value_kind:     hidden_grid_dims
    .group_segment_fixed_size: 0
    .kernarg_segment_align: 8
    .kernarg_segment_size: 320
    .language:       OpenCL C
    .language_version:
      - 2
      - 0
    .max_flat_workgroup_size: 1024
    .name:           _Z19kernel_createIndex5PKcPKiPKlPtS5_PlPii
    .private_segment_fixed_size: 0
    .sgpr_count:     20
    .sgpr_spill_count: 0
    .symbol:         _Z19kernel_createIndex5PKcPKiPKlPtS5_PlPii.kd
    .uniform_work_group_size: 1
    .uses_dynamic_stack: false
    .vgpr_count:     26
    .vgpr_spill_count: 0
    .wavefront_size: 64
  - .agpr_count:     0
    .args:
      - .address_space:  global
        .offset:         0
        .size:           8
        .value_kind:     global_buffer
      - .address_space:  global
        .offset:         8
        .size:           8
        .value_kind:     global_buffer
      - .address_space:  global
        .offset:         16
        .size:           8
        .value_kind:     global_buffer
      - .address_space:  global
        .offset:         24
        .size:           8
        .value_kind:     global_buffer
      - .address_space:  global
        .offset:         32
        .size:           8
        .value_kind:     global_buffer
      - .address_space:  global
        .offset:         40
        .size:           8
        .value_kind:     global_buffer
      - .address_space:  global
        .offset:         48
        .size:           8
        .value_kind:     global_buffer
      - .offset:         56
        .size:           4
        .value_kind:     by_value
      - .offset:         64
        .size:           4
        .value_kind:     hidden_block_count_x
      - .offset:         68
        .size:           4
        .value_kind:     hidden_block_count_y
      - .offset:         72
        .size:           4
        .value_kind:     hidden_block_count_z
      - .offset:         76
        .size:           2
        .value_kind:     hidden_group_size_x
      - .offset:         78
        .size:           2
        .value_kind:     hidden_group_size_y
      - .offset:         80
        .size:           2
        .value_kind:     hidden_group_size_z
      - .offset:         82
        .size:           2
        .value_kind:     hidden_remainder_x
      - .offset:         84
        .size:           2
        .value_kind:     hidden_remainder_y
      - .offset:         86
        .size:           2
        .value_kind:     hidden_remainder_z
      - .offset:         104
        .size:           8
        .value_kind:     hidden_global_offset_x
      - .offset:         112
        .size:           8
        .value_kind:     hidden_global_offset_y
      - .offset:         120
        .size:           8
        .value_kind:     hidden_global_offset_z
      - .offset:         128
        .size:           2
        .value_kind:     hidden_grid_dims
    .group_segment_fixed_size: 0
    .kernarg_segment_align: 8
    .kernarg_segment_size: 320
    .language:       OpenCL C
    .language_version:
      - 2
      - 0
    .max_flat_workgroup_size: 1024
    .name:           _Z19kernel_createIndex6PKcPKiPKlPtS5_PlPii
    .private_segment_fixed_size: 0
    .sgpr_count:     20
    .sgpr_spill_count: 0
    .symbol:         _Z19kernel_createIndex6PKcPKiPKlPtS5_PlPii.kd
    .uniform_work_group_size: 1
    .uses_dynamic_stack: false
    .vgpr_count:     28
    .vgpr_spill_count: 0
    .wavefront_size: 64
  - .agpr_count:     0
    .args:
      - .address_space:  global
        .offset:         0
        .size:           8
        .value_kind:     global_buffer
      - .address_space:  global
        .offset:         8
        .size:           8
        .value_kind:     global_buffer
      - .address_space:  global
        .offset:         16
        .size:           8
        .value_kind:     global_buffer
      - .address_space:  global
        .offset:         24
        .size:           8
        .value_kind:     global_buffer
      - .address_space:  global
        .offset:         32
        .size:           8
        .value_kind:     global_buffer
      - .address_space:  global
        .offset:         40
        .size:           8
        .value_kind:     global_buffer
      - .address_space:  global
        .offset:         48
        .size:           8
        .value_kind:     global_buffer
      - .offset:         56
        .size:           4
        .value_kind:     by_value
      - .offset:         64
        .size:           4
        .value_kind:     hidden_block_count_x
      - .offset:         68
        .size:           4
        .value_kind:     hidden_block_count_y
      - .offset:         72
        .size:           4
        .value_kind:     hidden_block_count_z
      - .offset:         76
        .size:           2
        .value_kind:     hidden_group_size_x
      - .offset:         78
        .size:           2
        .value_kind:     hidden_group_size_y
      - .offset:         80
        .size:           2
        .value_kind:     hidden_group_size_z
      - .offset:         82
        .size:           2
        .value_kind:     hidden_remainder_x
      - .offset:         84
        .size:           2
        .value_kind:     hidden_remainder_y
      - .offset:         86
        .size:           2
        .value_kind:     hidden_remainder_z
      - .offset:         104
        .size:           8
        .value_kind:     hidden_global_offset_x
      - .offset:         112
        .size:           8
        .value_kind:     hidden_global_offset_y
      - .offset:         120
        .size:           8
        .value_kind:     hidden_global_offset_z
      - .offset:         128
        .size:           2
        .value_kind:     hidden_grid_dims
    .group_segment_fixed_size: 0
    .kernarg_segment_align: 8
    .kernarg_segment_size: 320
    .language:       OpenCL C
    .language_version:
      - 2
      - 0
    .max_flat_workgroup_size: 1024
    .name:           _Z19kernel_createIndex7PKcPKiPKlPtS5_PlPii
    .private_segment_fixed_size: 0
    .sgpr_count:     20
    .sgpr_spill_count: 0
    .symbol:         _Z19kernel_createIndex7PKcPKiPKlPtS5_PlPii.kd
    .uniform_work_group_size: 1
    .uses_dynamic_stack: false
    .vgpr_count:     30
    .vgpr_spill_count: 0
    .wavefront_size: 64
  - .agpr_count:     0
    .args:
      - .offset:         0
        .size:           4
        .value_kind:     by_value
      - .offset:         4
        .size:           4
        .value_kind:     by_value
      - .address_space:  global
        .offset:         8
        .size:           8
        .value_kind:     global_buffer
      - .address_space:  global
        .offset:         16
        .size:           8
        .value_kind:     global_buffer
      - .address_space:  global
        .offset:         24
        .size:           8
        .value_kind:     global_buffer
      - .offset:         32
        .size:           4
        .value_kind:     by_value
      - .offset:         40
        .size:           4
        .value_kind:     hidden_block_count_x
      - .offset:         44
        .size:           4
        .value_kind:     hidden_block_count_y
      - .offset:         48
        .size:           4
        .value_kind:     hidden_block_count_z
      - .offset:         52
        .size:           2
        .value_kind:     hidden_group_size_x
      - .offset:         54
        .size:           2
        .value_kind:     hidden_group_size_y
      - .offset:         56
        .size:           2
        .value_kind:     hidden_group_size_z
      - .offset:         58
        .size:           2
        .value_kind:     hidden_remainder_x
      - .offset:         60
        .size:           2
        .value_kind:     hidden_remainder_y
      - .offset:         62
        .size:           2
        .value_kind:     hidden_remainder_z
      - .offset:         80
        .size:           8
        .value_kind:     hidden_global_offset_x
      - .offset:         88
        .size:           8
        .value_kind:     hidden_global_offset_y
      - .offset:         96
        .size:           8
        .value_kind:     hidden_global_offset_z
      - .offset:         104
        .size:           2
        .value_kind:     hidden_grid_dims
    .group_segment_fixed_size: 0
    .kernarg_segment_align: 8
    .kernarg_segment_size: 296
    .language:       OpenCL C
    .language_version:
      - 2
      - 0
    .max_flat_workgroup_size: 1024
    .name:           _Z19kernel_createCutofffiPKiPlPii
    .private_segment_fixed_size: 0
    .sgpr_count:     12
    .sgpr_spill_count: 0
    .symbol:         _Z19kernel_createCutofffiPKiPlPii.kd
    .uniform_work_group_size: 1
    .uses_dynamic_stack: false
    .vgpr_count:     6
    .vgpr_spill_count: 0
    .wavefront_size: 64
  - .agpr_count:     0
    .args:
      - .address_space:  global
        .offset:         0
        .size:           8
        .value_kind:     global_buffer
      - .address_space:  global
        .offset:         8
        .size:           8
        .value_kind:     global_buffer
      - .address_space:  global
        .offset:         16
        .size:           8
        .value_kind:     global_buffer
      - .address_space:  global
        .offset:         24
        .size:           8
        .value_kind:     global_buffer
      - .offset:         32
        .size:           4
        .value_kind:     by_value
      - .offset:         40
        .size:           4
        .value_kind:     hidden_block_count_x
      - .offset:         44
        .size:           4
        .value_kind:     hidden_block_count_y
      - .offset:         48
        .size:           4
        .value_kind:     hidden_block_count_z
      - .offset:         52
        .size:           2
        .value_kind:     hidden_group_size_x
      - .offset:         54
        .size:           2
        .value_kind:     hidden_group_size_y
      - .offset:         56
        .size:           2
        .value_kind:     hidden_group_size_z
      - .offset:         58
        .size:           2
        .value_kind:     hidden_remainder_x
      - .offset:         60
        .size:           2
        .value_kind:     hidden_remainder_y
      - .offset:         62
        .size:           2
        .value_kind:     hidden_remainder_z
      - .offset:         80
        .size:           8
        .value_kind:     hidden_global_offset_x
      - .offset:         88
        .size:           8
        .value_kind:     hidden_global_offset_y
      - .offset:         96
        .size:           8
        .value_kind:     hidden_global_offset_z
      - .offset:         104
        .size:           2
        .value_kind:     hidden_grid_dims
    .group_segment_fixed_size: 0
    .kernarg_segment_align: 8
    .kernarg_segment_size: 296
    .language:       OpenCL C
    .language_version:
      - 2
      - 0
    .max_flat_workgroup_size: 1024
    .name:           _Z17kernel_mergeIndexPKlPKtPtS0_i
    .private_segment_fixed_size: 0
    .sgpr_count:     12
    .sgpr_spill_count: 0
    .symbol:         _Z17kernel_mergeIndexPKlPKtPtS0_i.kd
    .uniform_work_group_size: 1
    .uses_dynamic_stack: false
    .vgpr_count:     11
    .vgpr_spill_count: 0
    .wavefront_size: 64
  - .agpr_count:     0
    .args:
      - .address_space:  global
        .offset:         0
        .size:           8
        .value_kind:     global_buffer
      - .address_space:  global
        .offset:         8
        .size:           8
        .value_kind:     global_buffer
      - .offset:         16
        .size:           4
        .value_kind:     by_value
    .group_segment_fixed_size: 0
    .kernarg_segment_align: 8
    .kernarg_segment_size: 20
    .language:       OpenCL C
    .language_version:
      - 2
      - 0
    .max_flat_workgroup_size: 1024
    .name:           _Z27kernel_updateRepresentativePiS_i
    .private_segment_fixed_size: 0
    .sgpr_count:     16
    .sgpr_spill_count: 0
    .symbol:         _Z27kernel_updateRepresentativePiS_i.kd
    .uniform_work_group_size: 1
    .uses_dynamic_stack: false
    .vgpr_count:     2
    .vgpr_spill_count: 0
    .wavefront_size: 64
  - .agpr_count:     0
    .args:
      - .address_space:  global
        .offset:         0
        .size:           8
        .value_kind:     global_buffer
      - .address_space:  global
        .offset:         8
        .size:           8
        .value_kind:     global_buffer
      - .address_space:  global
        .offset:         16
        .size:           8
        .value_kind:     global_buffer
      - .address_space:  global
        .offset:         24
        .size:           8
        .value_kind:     global_buffer
      - .address_space:  global
        .offset:         32
        .size:           8
        .value_kind:     global_buffer
      - .offset:         40
        .size:           4
        .value_kind:     by_value
      - .offset:         48
        .size:           4
        .value_kind:     hidden_block_count_x
      - .offset:         52
        .size:           4
        .value_kind:     hidden_block_count_y
      - .offset:         56
        .size:           4
        .value_kind:     hidden_block_count_z
      - .offset:         60
        .size:           2
        .value_kind:     hidden_group_size_x
      - .offset:         62
        .size:           2
        .value_kind:     hidden_group_size_y
      - .offset:         64
        .size:           2
        .value_kind:     hidden_group_size_z
      - .offset:         66
        .size:           2
        .value_kind:     hidden_remainder_x
      - .offset:         68
        .size:           2
        .value_kind:     hidden_remainder_y
      - .offset:         70
        .size:           2
        .value_kind:     hidden_remainder_z
      - .offset:         88
        .size:           8
        .value_kind:     hidden_global_offset_x
      - .offset:         96
        .size:           8
        .value_kind:     hidden_global_offset_y
      - .offset:         104
        .size:           8
        .value_kind:     hidden_global_offset_z
      - .offset:         112
        .size:           2
        .value_kind:     hidden_grid_dims
    .group_segment_fixed_size: 0
    .kernarg_segment_align: 8
    .kernarg_segment_size: 304
    .language:       OpenCL C
    .language_version:
      - 2
      - 0
    .max_flat_workgroup_size: 1024
    .name:           _Z16kernel_makeTablePKlPKtS2_S0_Pti
    .private_segment_fixed_size: 0
    .sgpr_count:     20
    .sgpr_spill_count: 0
    .symbol:         _Z16kernel_makeTablePKlPKtS2_S0_Pti.kd
    .uniform_work_group_size: 1
    .uses_dynamic_stack: false
    .vgpr_count:     7
    .vgpr_spill_count: 0
    .wavefront_size: 64
  - .agpr_count:     0
    .args:
      - .address_space:  global
        .offset:         0
        .size:           8
        .value_kind:     global_buffer
      - .address_space:  global
        .offset:         8
        .size:           8
        .value_kind:     global_buffer
      - .address_space:  global
        .offset:         16
        .size:           8
        .value_kind:     global_buffer
      - .address_space:  global
        .offset:         24
        .size:           8
        .value_kind:     global_buffer
      - .address_space:  global
        .offset:         32
        .size:           8
        .value_kind:     global_buffer
      - .offset:         40
        .size:           4
        .value_kind:     by_value
      - .offset:         48
        .size:           4
        .value_kind:     hidden_block_count_x
      - .offset:         52
        .size:           4
        .value_kind:     hidden_block_count_y
      - .offset:         56
        .size:           4
        .value_kind:     hidden_block_count_z
      - .offset:         60
        .size:           2
        .value_kind:     hidden_group_size_x
      - .offset:         62
        .size:           2
        .value_kind:     hidden_group_size_y
      - .offset:         64
        .size:           2
        .value_kind:     hidden_group_size_z
      - .offset:         66
        .size:           2
        .value_kind:     hidden_remainder_x
      - .offset:         68
        .size:           2
        .value_kind:     hidden_remainder_y
      - .offset:         70
        .size:           2
        .value_kind:     hidden_remainder_z
      - .offset:         88
        .size:           8
        .value_kind:     hidden_global_offset_x
      - .offset:         96
        .size:           8
        .value_kind:     hidden_global_offset_y
      - .offset:         104
        .size:           8
        .value_kind:     hidden_global_offset_z
      - .offset:         112
        .size:           2
        .value_kind:     hidden_grid_dims
    .group_segment_fixed_size: 0
    .kernarg_segment_align: 8
    .kernarg_segment_size: 304
    .language:       OpenCL C
    .language_version:
      - 2
      - 0
    .max_flat_workgroup_size: 1024
    .name:           _Z17kernel_cleanTablePKlPKtS2_S0_Pti
    .private_segment_fixed_size: 0
    .sgpr_count:     20
    .sgpr_spill_count: 0
    .symbol:         _Z17kernel_cleanTablePKlPKtS2_S0_Pti.kd
    .uniform_work_group_size: 1
    .uses_dynamic_stack: false
    .vgpr_count:     7
    .vgpr_spill_count: 0
    .wavefront_size: 64
  - .agpr_count:     0
    .args:
      - .offset:         0
        .size:           4
        .value_kind:     by_value
      - .address_space:  global
        .offset:         8
        .size:           8
        .value_kind:     global_buffer
      - .address_space:  global
        .offset:         16
        .size:           8
        .value_kind:     global_buffer
      - .address_space:  global
        .offset:         24
        .size:           8
        .value_kind:     global_buffer
      - .offset:         32
        .size:           4
        .value_kind:     by_value
      - .offset:         36
        .size:           4
        .value_kind:     by_value
      - .offset:         40
        .size:           4
        .value_kind:     hidden_block_count_x
      - .offset:         44
        .size:           4
        .value_kind:     hidden_block_count_y
      - .offset:         48
        .size:           4
        .value_kind:     hidden_block_count_z
      - .offset:         52
        .size:           2
        .value_kind:     hidden_group_size_x
      - .offset:         54
        .size:           2
        .value_kind:     hidden_group_size_y
      - .offset:         56
        .size:           2
        .value_kind:     hidden_group_size_z
      - .offset:         58
        .size:           2
        .value_kind:     hidden_remainder_x
      - .offset:         60
        .size:           2
        .value_kind:     hidden_remainder_y
      - .offset:         62
        .size:           2
        .value_kind:     hidden_remainder_z
      - .offset:         80
        .size:           8
        .value_kind:     hidden_global_offset_x
      - .offset:         88
        .size:           8
        .value_kind:     hidden_global_offset_y
      - .offset:         96
        .size:           8
        .value_kind:     hidden_global_offset_z
      - .offset:         104
        .size:           2
        .value_kind:     hidden_grid_dims
    .group_segment_fixed_size: 0
    .kernarg_segment_align: 8
    .kernarg_segment_size: 296
    .language:       OpenCL C
    .language_version:
      - 2
      - 0
    .max_flat_workgroup_size: 1024
    .name:           _Z12kernel_magicfPKiS0_Piii
    .private_segment_fixed_size: 0
    .sgpr_count:     16
    .sgpr_spill_count: 0
    .symbol:         _Z12kernel_magicfPKiS0_Piii.kd
    .uniform_work_group_size: 1
    .uses_dynamic_stack: false
    .vgpr_count:     11
    .vgpr_spill_count: 0
    .wavefront_size: 64
  - .agpr_count:     0
    .args:
      - .offset:         0
        .size:           4
        .value_kind:     by_value
      - .offset:         4
        .size:           4
        .value_kind:     by_value
      - .address_space:  global
        .offset:         8
        .size:           8
        .value_kind:     global_buffer
      - .address_space:  global
        .offset:         16
        .size:           8
        .value_kind:     global_buffer
      - .address_space:  global
        .offset:         24
        .size:           8
        .value_kind:     global_buffer
      - .address_space:  global
        .offset:         32
        .size:           8
        .value_kind:     global_buffer
      - .address_space:  global
        .offset:         40
        .size:           8
        .value_kind:     global_buffer
      - .address_space:  global
        .offset:         48
        .size:           8
        .value_kind:     global_buffer
      - .address_space:  global
        .offset:         56
        .size:           8
        .value_kind:     global_buffer
      - .address_space:  global
        .offset:         64
        .size:           8
        .value_kind:     global_buffer
      - .offset:         72
        .size:           4
        .value_kind:     by_value
    .group_segment_fixed_size: 512
    .kernarg_segment_align: 8
    .kernarg_segment_size: 76
    .language:       OpenCL C
    .language_version:
      - 2
      - 0
    .max_flat_workgroup_size: 1024
    .name:           _Z13kernel_filterfiPKiPKlPKtS4_S2_S0_PiS4_i
    .private_segment_fixed_size: 0
    .sgpr_count:     30
    .sgpr_spill_count: 0
    .symbol:         _Z13kernel_filterfiPKiPKlPKtS4_S2_S0_PiS4_i.kd
    .uniform_work_group_size: 1
    .uses_dynamic_stack: false
    .vgpr_count:     23
    .vgpr_spill_count: 0
    .wavefront_size: 64
  - .agpr_count:     0
    .args:
      - .offset:         0
        .size:           4
        .value_kind:     by_value
      - .address_space:  global
        .offset:         8
        .size:           8
        .value_kind:     global_buffer
      - .address_space:  global
        .offset:         16
        .size:           8
        .value_kind:     global_buffer
      - .address_space:  global
        .offset:         24
        .size:           8
        .value_kind:     global_buffer
      - .address_space:  global
        .offset:         32
        .size:           8
        .value_kind:     global_buffer
      - .offset:         40
        .size:           4
        .value_kind:     by_value
      - .address_space:  global
        .offset:         48
        .size:           8
        .value_kind:     global_buffer
      - .offset:         56
        .size:           4
        .value_kind:     by_value
      - .offset:         64
        .size:           4
        .value_kind:     hidden_block_count_x
      - .offset:         68
        .size:           4
        .value_kind:     hidden_block_count_y
      - .offset:         72
        .size:           4
        .value_kind:     hidden_block_count_z
      - .offset:         76
        .size:           2
        .value_kind:     hidden_group_size_x
      - .offset:         78
        .size:           2
        .value_kind:     hidden_group_size_y
      - .offset:         80
        .size:           2
        .value_kind:     hidden_group_size_z
      - .offset:         82
        .size:           2
        .value_kind:     hidden_remainder_x
      - .offset:         84
        .size:           2
        .value_kind:     hidden_remainder_y
      - .offset:         86
        .size:           2
        .value_kind:     hidden_remainder_z
      - .offset:         104
        .size:           8
        .value_kind:     hidden_global_offset_x
      - .offset:         112
        .size:           8
        .value_kind:     hidden_global_offset_y
      - .offset:         120
        .size:           8
        .value_kind:     hidden_global_offset_z
      - .offset:         128
        .size:           2
        .value_kind:     hidden_grid_dims
    .group_segment_fixed_size: 0
    .kernarg_segment_align: 8
    .kernarg_segment_size: 320
    .language:       OpenCL C
    .language_version:
      - 2
      - 0
    .max_flat_workgroup_size: 1024
    .name:           _Z12kernel_alignfPKiPKlPKjS0_iPii
    .private_segment_fixed_size: 12176
    .sgpr_count:     36
    .sgpr_spill_count: 0
    .symbol:         _Z12kernel_alignfPKiPKlPKjS0_iPii.kd
    .uniform_work_group_size: 1
    .uses_dynamic_stack: false
    .vgpr_count:     90
    .vgpr_spill_count: 0
    .wavefront_size: 64
amdhsa.target:   amdgcn-amd-amdhsa--gfx90a
amdhsa.version:
  - 1
  - 2
...

	.end_amdgpu_metadata
